;; amdgpu-corpus repo=ROCm/rocFFT kind=compiled arch=gfx950 opt=O3
	.text
	.amdgcn_target "amdgcn-amd-amdhsa--gfx950"
	.amdhsa_code_object_version 6
	.protected	fft_rtc_fwd_len3200_factors_10_10_4_4_2_wgs_160_tpt_160_halfLds_sp_ip_CI_sbrr_dirReg ; -- Begin function fft_rtc_fwd_len3200_factors_10_10_4_4_2_wgs_160_tpt_160_halfLds_sp_ip_CI_sbrr_dirReg
	.globl	fft_rtc_fwd_len3200_factors_10_10_4_4_2_wgs_160_tpt_160_halfLds_sp_ip_CI_sbrr_dirReg
	.p2align	8
	.type	fft_rtc_fwd_len3200_factors_10_10_4_4_2_wgs_160_tpt_160_halfLds_sp_ip_CI_sbrr_dirReg,@function
fft_rtc_fwd_len3200_factors_10_10_4_4_2_wgs_160_tpt_160_halfLds_sp_ip_CI_sbrr_dirReg: ; @fft_rtc_fwd_len3200_factors_10_10_4_4_2_wgs_160_tpt_160_halfLds_sp_ip_CI_sbrr_dirReg
; %bb.0:
	s_load_dwordx2 s[12:13], s[0:1], 0x18
	s_load_dwordx4 s[4:7], s[0:1], 0x0
	s_load_dwordx2 s[10:11], s[0:1], 0x50
	v_mul_u32_u24_e32 v1, 0x19a, v0
	v_add_u32_sdwa v6, s2, v1 dst_sel:DWORD dst_unused:UNUSED_PAD src0_sel:DWORD src1_sel:WORD_1
	s_waitcnt lgkmcnt(0)
	s_load_dwordx2 s[8:9], s[12:13], 0x0
	v_mov_b32_e32 v4, 0
	v_cmp_lt_u64_e64 s[2:3], s[6:7], 2
	v_mov_b32_e32 v7, v4
	s_and_b64 vcc, exec, s[2:3]
	v_mov_b64_e32 v[2:3], 0
	s_cbranch_vccnz .LBB0_8
; %bb.1:
	s_load_dwordx2 s[2:3], s[0:1], 0x10
	s_add_u32 s14, s12, 8
	s_addc_u32 s15, s13, 0
	s_mov_b64 s[16:17], 1
	v_mov_b64_e32 v[2:3], 0
	s_waitcnt lgkmcnt(0)
	s_add_u32 s18, s2, 8
	s_addc_u32 s19, s3, 0
.LBB0_2:                                ; =>This Inner Loop Header: Depth=1
	s_load_dwordx2 s[20:21], s[18:19], 0x0
                                        ; implicit-def: $vgpr8_vgpr9
	s_waitcnt lgkmcnt(0)
	v_or_b32_e32 v5, s21, v7
	v_cmp_ne_u64_e32 vcc, 0, v[4:5]
	s_and_saveexec_b64 s[2:3], vcc
	s_xor_b64 s[22:23], exec, s[2:3]
	s_cbranch_execz .LBB0_4
; %bb.3:                                ;   in Loop: Header=BB0_2 Depth=1
	v_cvt_f32_u32_e32 v1, s20
	v_cvt_f32_u32_e32 v5, s21
	s_sub_u32 s2, 0, s20
	s_subb_u32 s3, 0, s21
	v_fmac_f32_e32 v1, 0x4f800000, v5
	v_rcp_f32_e32 v1, v1
	s_nop 0
	v_mul_f32_e32 v1, 0x5f7ffffc, v1
	v_mul_f32_e32 v5, 0x2f800000, v1
	v_trunc_f32_e32 v5, v5
	v_fmac_f32_e32 v1, 0xcf800000, v5
	v_cvt_u32_f32_e32 v5, v5
	v_cvt_u32_f32_e32 v1, v1
	v_mul_lo_u32 v8, s2, v5
	v_mul_hi_u32 v10, s2, v1
	v_mul_lo_u32 v9, s3, v1
	v_add_u32_e32 v10, v10, v8
	v_mul_lo_u32 v12, s2, v1
	v_add_u32_e32 v13, v10, v9
	v_mul_hi_u32 v8, v1, v12
	v_mul_hi_u32 v11, v1, v13
	v_mul_lo_u32 v10, v1, v13
	v_mov_b32_e32 v9, v4
	v_lshl_add_u64 v[8:9], v[8:9], 0, v[10:11]
	v_mul_hi_u32 v11, v5, v12
	v_mul_lo_u32 v12, v5, v12
	v_add_co_u32_e32 v8, vcc, v8, v12
	v_mul_hi_u32 v10, v5, v13
	s_nop 0
	v_addc_co_u32_e32 v8, vcc, v9, v11, vcc
	v_mov_b32_e32 v9, v4
	s_nop 0
	v_addc_co_u32_e32 v11, vcc, 0, v10, vcc
	v_mul_lo_u32 v10, v5, v13
	v_lshl_add_u64 v[8:9], v[8:9], 0, v[10:11]
	v_add_co_u32_e32 v1, vcc, v1, v8
	v_mul_lo_u32 v10, s2, v1
	s_nop 0
	v_addc_co_u32_e32 v5, vcc, v5, v9, vcc
	v_mul_lo_u32 v8, s2, v5
	v_mul_hi_u32 v9, s2, v1
	v_add_u32_e32 v8, v9, v8
	v_mul_lo_u32 v9, s3, v1
	v_add_u32_e32 v12, v8, v9
	v_mul_hi_u32 v14, v5, v10
	v_mul_lo_u32 v15, v5, v10
	v_mul_hi_u32 v9, v1, v12
	v_mul_lo_u32 v8, v1, v12
	v_mul_hi_u32 v10, v1, v10
	v_mov_b32_e32 v11, v4
	v_lshl_add_u64 v[8:9], v[10:11], 0, v[8:9]
	v_add_co_u32_e32 v8, vcc, v8, v15
	v_mul_hi_u32 v13, v5, v12
	s_nop 0
	v_addc_co_u32_e32 v8, vcc, v9, v14, vcc
	v_mul_lo_u32 v10, v5, v12
	s_nop 0
	v_addc_co_u32_e32 v11, vcc, 0, v13, vcc
	v_mov_b32_e32 v9, v4
	v_lshl_add_u64 v[8:9], v[8:9], 0, v[10:11]
	v_add_co_u32_e32 v1, vcc, v1, v8
	v_mul_hi_u32 v10, v6, v1
	s_nop 0
	v_addc_co_u32_e32 v5, vcc, v5, v9, vcc
	v_mad_u64_u32 v[8:9], s[2:3], v6, v5, 0
	v_mov_b32_e32 v11, v4
	v_lshl_add_u64 v[8:9], v[10:11], 0, v[8:9]
	v_mad_u64_u32 v[12:13], s[2:3], v7, v1, 0
	v_add_co_u32_e32 v1, vcc, v8, v12
	v_mad_u64_u32 v[10:11], s[2:3], v7, v5, 0
	s_nop 0
	v_addc_co_u32_e32 v8, vcc, v9, v13, vcc
	v_mov_b32_e32 v9, v4
	s_nop 0
	v_addc_co_u32_e32 v11, vcc, 0, v11, vcc
	v_lshl_add_u64 v[8:9], v[8:9], 0, v[10:11]
	v_mul_lo_u32 v1, s21, v8
	v_mul_lo_u32 v5, s20, v9
	v_mad_u64_u32 v[10:11], s[2:3], s20, v8, 0
	v_add3_u32 v1, v11, v5, v1
	v_sub_u32_e32 v5, v7, v1
	v_mov_b32_e32 v11, s21
	v_sub_co_u32_e32 v14, vcc, v6, v10
	v_lshl_add_u64 v[12:13], v[8:9], 0, 1
	s_nop 0
	v_subb_co_u32_e64 v5, s[2:3], v5, v11, vcc
	v_subrev_co_u32_e64 v10, s[2:3], s20, v14
	v_subb_co_u32_e32 v1, vcc, v7, v1, vcc
	s_nop 0
	v_subbrev_co_u32_e64 v5, s[2:3], 0, v5, s[2:3]
	v_cmp_le_u32_e64 s[2:3], s21, v5
	v_cmp_le_u32_e32 vcc, s21, v1
	s_nop 0
	v_cndmask_b32_e64 v11, 0, -1, s[2:3]
	v_cmp_le_u32_e64 s[2:3], s20, v10
	s_nop 1
	v_cndmask_b32_e64 v10, 0, -1, s[2:3]
	v_cmp_eq_u32_e64 s[2:3], s21, v5
	s_nop 1
	v_cndmask_b32_e64 v5, v11, v10, s[2:3]
	v_lshl_add_u64 v[10:11], v[8:9], 0, 2
	v_cmp_ne_u32_e64 s[2:3], 0, v5
	s_nop 1
	v_cndmask_b32_e64 v5, v13, v11, s[2:3]
	v_cndmask_b32_e64 v11, 0, -1, vcc
	v_cmp_le_u32_e32 vcc, s20, v14
	s_nop 1
	v_cndmask_b32_e64 v13, 0, -1, vcc
	v_cmp_eq_u32_e32 vcc, s21, v1
	s_nop 1
	v_cndmask_b32_e32 v1, v11, v13, vcc
	v_cmp_ne_u32_e32 vcc, 0, v1
	v_cndmask_b32_e64 v1, v12, v10, s[2:3]
	s_nop 0
	v_cndmask_b32_e32 v9, v9, v5, vcc
	v_cndmask_b32_e32 v8, v8, v1, vcc
.LBB0_4:                                ;   in Loop: Header=BB0_2 Depth=1
	s_andn2_saveexec_b64 s[2:3], s[22:23]
	s_cbranch_execz .LBB0_6
; %bb.5:                                ;   in Loop: Header=BB0_2 Depth=1
	v_cvt_f32_u32_e32 v1, s20
	s_sub_i32 s22, 0, s20
	v_rcp_iflag_f32_e32 v1, v1
	s_nop 0
	v_mul_f32_e32 v1, 0x4f7ffffe, v1
	v_cvt_u32_f32_e32 v1, v1
	v_mul_lo_u32 v5, s22, v1
	v_mul_hi_u32 v5, v1, v5
	v_add_u32_e32 v1, v1, v5
	v_mul_hi_u32 v1, v6, v1
	v_mul_lo_u32 v5, v1, s20
	v_sub_u32_e32 v5, v6, v5
	v_add_u32_e32 v8, 1, v1
	v_subrev_u32_e32 v9, s20, v5
	v_cmp_le_u32_e32 vcc, s20, v5
	s_nop 1
	v_cndmask_b32_e32 v5, v5, v9, vcc
	v_cndmask_b32_e32 v1, v1, v8, vcc
	v_add_u32_e32 v8, 1, v1
	v_cmp_le_u32_e32 vcc, s20, v5
	v_mov_b32_e32 v9, v4
	s_nop 0
	v_cndmask_b32_e32 v8, v1, v8, vcc
.LBB0_6:                                ;   in Loop: Header=BB0_2 Depth=1
	s_or_b64 exec, exec, s[2:3]
	v_mad_u64_u32 v[10:11], s[2:3], v8, s20, 0
	s_load_dwordx2 s[2:3], s[14:15], 0x0
	v_mul_lo_u32 v1, v9, s20
	v_mul_lo_u32 v5, v8, s21
	v_add3_u32 v1, v11, v5, v1
	v_sub_co_u32_e32 v5, vcc, v6, v10
	s_add_u32 s16, s16, 1
	s_nop 0
	v_subb_co_u32_e32 v1, vcc, v7, v1, vcc
	s_addc_u32 s17, s17, 0
	s_waitcnt lgkmcnt(0)
	v_mul_lo_u32 v1, s2, v1
	v_mul_lo_u32 v6, s3, v5
	v_mad_u64_u32 v[2:3], s[2:3], s2, v5, v[2:3]
	s_add_u32 s14, s14, 8
	v_add3_u32 v3, v6, v3, v1
	s_addc_u32 s15, s15, 0
	v_mov_b64_e32 v[6:7], s[6:7]
	s_add_u32 s18, s18, 8
	v_cmp_ge_u64_e32 vcc, s[16:17], v[6:7]
	s_addc_u32 s19, s19, 0
	s_cbranch_vccnz .LBB0_9
; %bb.7:                                ;   in Loop: Header=BB0_2 Depth=1
	v_mov_b64_e32 v[6:7], v[8:9]
	s_branch .LBB0_2
.LBB0_8:
	v_mov_b64_e32 v[8:9], v[6:7]
.LBB0_9:
	s_lshl_b64 s[2:3], s[6:7], 3
	s_add_u32 s2, s12, s2
	s_addc_u32 s3, s13, s3
	s_load_dwordx2 s[6:7], s[2:3], 0x0
	s_load_dwordx2 s[12:13], s[0:1], 0x20
	s_mov_b32 s2, 0x199999a
                                        ; implicit-def: $vgpr14_vgpr15
                                        ; implicit-def: $vgpr26
                                        ; implicit-def: $vgpr12
                                        ; implicit-def: $vgpr16
                                        ; implicit-def: $vgpr18
                                        ; implicit-def: $vgpr20
                                        ; implicit-def: $vgpr22
                                        ; implicit-def: $vgpr24
	s_waitcnt lgkmcnt(0)
	v_mul_lo_u32 v1, s6, v9
	v_mul_lo_u32 v4, s7, v8
	v_mad_u64_u32 v[2:3], s[0:1], s6, v8, v[2:3]
	v_add3_u32 v3, v4, v3, v1
	v_mul_hi_u32 v1, v0, s2
	v_mul_u32_u24_e32 v1, 0xa0, v1
	v_cmp_gt_u64_e32 vcc, s[12:13], v[8:9]
	v_cmp_le_u64_e64 s[0:1], s[12:13], v[8:9]
	v_sub_u32_e32 v8, v0, v1
	s_and_saveexec_b64 s[2:3], s[0:1]
	s_xor_b64 s[0:1], exec, s[2:3]
; %bb.10:
	v_add_u32_e32 v26, 0xa0, v8
	v_add_u32_e32 v12, 0x280, v8
	;; [unrolled: 1-line block ×3, first 2 shown]
	v_or_b32_e32 v18, 0x500, v8
	v_add_u32_e32 v20, 0x320, v8
	v_add_u32_e32 v15, 0x140, v8
	v_add_u32_e32 v14, 0x1e0, v8
	v_add_u32_e32 v22, 0x460, v8
	v_add_u32_e32 v24, 0x5a0, v8
; %bb.11:
	s_or_saveexec_b64 s[0:1], s[0:1]
	v_lshl_add_u64 v[10:11], v[2:3], 3, s[10:11]
                                        ; implicit-def: $vgpr54
                                        ; implicit-def: $vgpr50
                                        ; implicit-def: $vgpr40
                                        ; implicit-def: $vgpr34
                                        ; implicit-def: $vgpr4
                                        ; implicit-def: $vgpr42
                                        ; implicit-def: $vgpr0
                                        ; implicit-def: $vgpr44
                                        ; implicit-def: $vgpr48
                                        ; implicit-def: $vgpr46
                                        ; implicit-def: $vgpr28
                                        ; implicit-def: $vgpr62
                                        ; implicit-def: $vgpr30
                                        ; implicit-def: $vgpr66
                                        ; implicit-def: $vgpr64
                                        ; implicit-def: $vgpr60
                                        ; implicit-def: $vgpr6
                                        ; implicit-def: $vgpr38
                                        ; implicit-def: $vgpr52
                                        ; implicit-def: $vgpr32
                                        ; implicit-def: $vgpr36
                                        ; implicit-def: $vgpr2
	s_xor_b64 exec, exec, s[0:1]
	s_cbranch_execz .LBB0_13
; %bb.12:
	v_mad_u64_u32 v[0:1], s[2:3], s8, v8, 0
	v_mov_b32_e32 v2, v1
	v_mad_u64_u32 v[2:3], s[2:3], s9, v8, v[2:3]
	v_mov_b32_e32 v1, v2
	v_lshl_add_u64 v[0:1], v[0:1], 3, v[10:11]
	v_add_u32_e32 v15, 0x140, v8
	global_load_dwordx2 v[56:57], v[0:1], off
	v_mad_u64_u32 v[0:1], s[2:3], s8, v15, 0
	v_mov_b32_e32 v2, v1
	v_mad_u64_u32 v[2:3], s[2:3], s9, v15, v[2:3]
	v_add_u32_e32 v12, 0x280, v8
	v_mov_b32_e32 v1, v2
	v_mad_u64_u32 v[2:3], s[2:3], s8, v12, 0
	v_mov_b32_e32 v4, v3
	v_mad_u64_u32 v[4:5], s[2:3], s9, v12, v[4:5]
	v_add_u32_e32 v16, 0x3c0, v8
	v_mov_b32_e32 v3, v4
	v_mad_u64_u32 v[4:5], s[2:3], s8, v16, 0
	v_mov_b32_e32 v6, v5
	v_mad_u64_u32 v[6:7], s[2:3], s9, v16, v[6:7]
	v_or_b32_e32 v18, 0x500, v8
	v_mov_b32_e32 v5, v6
	v_mad_u64_u32 v[6:7], s[2:3], s8, v18, 0
	v_mov_b32_e32 v20, v7
	v_add_u32_e32 v9, 0x640, v8
	v_mad_u64_u32 v[20:21], s[2:3], s9, v18, v[20:21]
	v_mad_u64_u32 v[28:29], s[2:3], s8, v9, 0
	v_mov_b32_e32 v7, v20
	v_mov_b32_e32 v20, v29
	v_mad_u64_u32 v[20:21], s[2:3], s9, v9, v[20:21]
	v_add_u32_e32 v9, 0x780, v8
	v_mad_u64_u32 v[30:31], s[2:3], s8, v9, 0
	v_mov_b32_e32 v29, v20
	v_mov_b32_e32 v20, v31
	v_mad_u64_u32 v[20:21], s[2:3], s9, v9, v[20:21]
	v_add_u32_e32 v9, 0x8c0, v8
	v_mad_u64_u32 v[32:33], s[2:3], s8, v9, 0
	v_mov_b32_e32 v31, v20
	v_mov_b32_e32 v20, v33
	v_mad_u64_u32 v[20:21], s[2:3], s9, v9, v[20:21]
	v_or_b32_e32 v9, 0xa00, v8
	v_mad_u64_u32 v[34:35], s[2:3], s8, v9, 0
	v_mov_b32_e32 v33, v20
	v_mov_b32_e32 v20, v35
	v_mad_u64_u32 v[20:21], s[2:3], s9, v9, v[20:21]
	v_add_u32_e32 v9, 0xb40, v8
	v_mad_u64_u32 v[36:37], s[2:3], s8, v9, 0
	v_mov_b32_e32 v35, v20
	v_mov_b32_e32 v20, v37
	v_add_u32_e32 v26, 0xa0, v8
	v_mad_u64_u32 v[20:21], s[2:3], s9, v9, v[20:21]
	v_mad_u64_u32 v[38:39], s[2:3], s8, v26, 0
	v_add_u32_e32 v14, 0x1e0, v8
	v_mov_b32_e32 v37, v20
	v_mov_b32_e32 v20, v39
	v_mad_u64_u32 v[20:21], s[2:3], s9, v26, v[20:21]
	v_mad_u64_u32 v[40:41], s[2:3], s8, v14, 0
	v_mov_b32_e32 v39, v20
	v_mov_b32_e32 v20, v41
	v_mad_u64_u32 v[20:21], s[2:3], s9, v14, v[20:21]
	v_mov_b32_e32 v41, v20
	v_add_u32_e32 v20, 0x320, v8
	v_mad_u64_u32 v[42:43], s[2:3], s8, v20, 0
	v_mov_b32_e32 v22, v43
	v_mad_u64_u32 v[22:23], s[2:3], s9, v20, v[22:23]
	v_mov_b32_e32 v43, v22
	v_add_u32_e32 v22, 0x460, v8
	v_mad_u64_u32 v[44:45], s[2:3], s8, v22, 0
	;; [unrolled: 5-line block ×3, first 2 shown]
	v_mov_b32_e32 v48, v47
	v_mad_u64_u32 v[48:49], s[2:3], s9, v24, v[48:49]
	v_add_u32_e32 v9, 0x6e0, v8
	v_mov_b32_e32 v47, v48
	v_mad_u64_u32 v[48:49], s[2:3], s8, v9, 0
	v_mov_b32_e32 v50, v49
	v_mad_u64_u32 v[50:51], s[2:3], s9, v9, v[50:51]
	v_add_u32_e32 v9, 0x820, v8
	v_mad_u64_u32 v[58:59], s[2:3], s8, v9, 0
	v_mov_b32_e32 v49, v50
	v_mov_b32_e32 v50, v59
	v_mad_u64_u32 v[50:51], s[2:3], s9, v9, v[50:51]
	v_add_u32_e32 v9, 0x960, v8
	v_mad_u64_u32 v[68:69], s[2:3], s8, v9, 0
	v_mov_b32_e32 v59, v50
	;; [unrolled: 5-line block ×4, first 2 shown]
	v_mov_b32_e32 v50, v73
	v_lshl_add_u64 v[2:3], v[2:3], 3, v[10:11]
	v_lshl_add_u64 v[4:5], v[4:5], 3, v[10:11]
	;; [unrolled: 1-line block ×3, first 2 shown]
	v_mad_u64_u32 v[74:75], s[2:3], s9, v9, v[50:51]
	v_lshl_add_u64 v[0:1], v[0:1], 3, v[10:11]
	global_load_dwordx2 v[50:51], v[6:7], off
	v_lshl_add_u64 v[6:7], v[28:29], 3, v[10:11]
	v_lshl_add_u64 v[28:29], v[30:31], 3, v[10:11]
	;; [unrolled: 1-line block ×3, first 2 shown]
	global_load_dwordx2 v[64:65], v[4:5], off
	global_load_dwordx2 v[54:55], v[2:3], off
	;; [unrolled: 1-line block ×6, first 2 shown]
	v_lshl_add_u64 v[2:3], v[42:43], 3, v[10:11]
	v_lshl_add_u64 v[4:5], v[40:41], 3, v[10:11]
	global_load_dwordx2 v[40:41], v[2:3], off
	v_lshl_add_u64 v[2:3], v[46:47], 3, v[10:11]
	v_lshl_add_u64 v[76:77], v[34:35], 3, v[10:11]
	;; [unrolled: 1-line block ×3, first 2 shown]
	global_load_dwordx2 v[34:35], v[2:3], off
	v_lshl_add_u64 v[2:3], v[58:59], 3, v[10:11]
	v_mov_b32_e32 v73, v74
	v_lshl_add_u64 v[78:79], v[36:37], 3, v[10:11]
	v_lshl_add_u64 v[6:7], v[44:45], 3, v[10:11]
	;; [unrolled: 1-line block ×3, first 2 shown]
	global_load_dwordx2 v[36:37], v[2:3], off
	v_lshl_add_u64 v[38:39], v[68:69], 3, v[10:11]
	v_lshl_add_u64 v[58:59], v[70:71], 3, v[10:11]
	global_load_dwordx2 v[32:33], v[76:77], off
	global_load_dwordx2 v[30:31], v[78:79], off
	;; [unrolled: 1-line block ×3, first 2 shown]
	v_lshl_add_u64 v[70:71], v[72:73], 3, v[10:11]
	global_load_dwordx2 v[46:47], v[4:5], off
	global_load_dwordx2 v[44:45], v[28:29], off
	global_load_dwordx2 v[48:49], v[6:7], off
	global_load_dwordx2 v[0:1], v[70:71], off
	global_load_dwordx2 v[2:3], v[58:59], off
	global_load_dwordx2 v[42:43], v[38:39], off
	s_waitcnt vmcnt(19)
	v_mov_b32_e32 v28, v57
	v_mov_b32_e32 v39, v56
	s_waitcnt vmcnt(18)
	v_mov_b32_e32 v29, v51
	s_waitcnt vmcnt(16)
	v_mov_b32_e32 v38, v55
	s_waitcnt vmcnt(11)
	v_mov_b32_e32 v6, v41
	s_waitcnt vmcnt(10)
	v_mov_b32_e32 v5, v35
	s_waitcnt vmcnt(6)
	v_mov_b32_e32 v4, v69
	v_mov_b32_e32 v7, v68
.LBB0_13:
	s_or_b64 exec, exec, s[0:1]
	v_mov_b32_e32 v55, v32
	v_mov_b32_e32 v51, v52
	v_pk_add_f32 v[56:57], v[54:55], v[50:51] neg_lo:[0,1] neg_hi:[0,1]
	s_mov_b32 s0, 0x3e9e377a
	v_mov_b32_e32 v58, v57
	s_mov_b32 s1, 0x3f167918
	v_pk_add_f32 v[70:71], v[56:57], v[58:59]
	s_mov_b32 s2, 0x3f737871
	s_mov_b32 s3, s1
	v_pk_add_f32 v[56:57], v[66:67], v[62:63]
	v_pk_add_f32 v[80:81], v[64:65], v[30:31] neg_lo:[0,1] neg_hi:[0,1]
	v_pk_fma_f32 v[56:57], v[56:57], 0.5, v[60:61] op_sel_hi:[1,0,1] neg_lo:[1,0,0] neg_hi:[1,0,0]
	v_pk_mul_f32 v[58:59], v[80:81], s[2:3] op_sel_hi:[1,0]
	s_waitcnt vmcnt(0)
	v_mov_b32_e32 v68, v43
	v_pk_add_f32 v[82:83], v[56:57], v[58:59] op_sel:[0,1] op_sel_hi:[1,0]
	v_pk_add_f32 v[78:79], v[56:57], v[58:59] op_sel:[0,1] op_sel_hi:[1,0] neg_lo:[0,1] neg_hi:[0,1]
	v_pk_add_f32 v[56:57], v[64:65], v[66:67] neg_lo:[0,1] neg_hi:[0,1]
	v_pk_add_f32 v[58:59], v[30:31], v[62:63] neg_lo:[0,1] neg_hi:[0,1]
	v_mov_b32_e32 v69, v45
	v_pk_add_f32 v[76:77], v[58:59], v[56:57]
	v_pk_add_f32 v[56:57], v[6:7], v[4:5]
	v_pk_add_f32 v[58:59], v[6:7], v[4:5] op_sel_hi:[0,1] neg_lo:[0,1] neg_hi:[0,1]
	v_mov_b32_e32 v57, v59
	v_mov_b32_e32 v58, v1
	;; [unrolled: 1-line block ×3, first 2 shown]
	v_pk_add_f32 v[58:59], v[58:59], v[68:69] neg_lo:[0,1] neg_hi:[0,1]
	v_pk_add_f32 v[68:69], v[0:1], v[42:43] neg_lo:[0,1] neg_hi:[0,1]
	v_pk_add_f32 v[72:73], v[48:49], v[44:45] neg_lo:[0,1] neg_hi:[0,1]
	v_mov_b32_e32 v69, v68
	v_mov_b32_e32 v68, v58
	;; [unrolled: 1-line block ×4, first 2 shown]
	v_pk_add_f32 v[68:69], v[68:69], v[58:59]
	v_pk_add_f32 v[58:59], v[2:3], v[36:37] neg_lo:[0,1] neg_hi:[0,1]
	v_pk_add_f32 v[72:73], v[48:49], v[0:1] neg_lo:[0,1] neg_hi:[0,1]
	v_mov_b32_e32 v58, v5
	v_pk_add_f32 v[56:57], v[56:57], v[58:59]
	v_pk_add_f32 v[58:59], v[42:43], v[44:45]
	v_pk_add_f32 v[96:97], v[44:45], v[42:43] neg_lo:[0,1] neg_hi:[0,1]
	v_pk_fma_f32 v[74:75], v[58:59], 0.5, v[46:47] op_sel_hi:[1,0,1] neg_lo:[1,0,0] neg_hi:[1,0,0]
	v_mov_b32_e32 v92, v72
	v_mov_b32_e32 v93, v96
	;; [unrolled: 1-line block ×3, first 2 shown]
	v_pk_fma_f32 v[58:59], v[92:93], s[2:3], v[58:59] neg_lo:[1,0,0] neg_hi:[1,0,0]
	v_pk_add_f32 v[84:85], v[48:49], v[46:47]
	v_mov_b32_e32 v9, v58
	v_pk_fma_f32 v[58:59], v[92:93], s[2:3], v[8:9] neg_lo:[1,0,0] neg_hi:[1,0,0]
	v_pk_mul_f32 v[98:99], v[68:69], s[0:1] op_sel_hi:[1,0]
	v_mov_b32_e32 v58, v85
	v_mov_b32_e32 v84, v45
	;; [unrolled: 1-line block ×3, first 2 shown]
	s_mov_b32 s6, s1
	v_pk_add_f32 v[94:95], v[66:67], v[62:63] neg_lo:[0,1] neg_hi:[0,1]
	v_pk_add_f32 v[58:59], v[84:85], v[58:59]
	v_pk_mul_f32 v[84:85], v[94:95], s[6:7] op_sel_hi:[1,0]
	v_pk_add_f32 v[86:87], v[60:61], v[64:65]
	v_pk_add_f32 v[78:79], v[78:79], v[84:85] op_sel:[0,1] op_sel_hi:[1,0] neg_lo:[0,1] neg_hi:[0,1]
	v_pk_add_f32 v[104:105], v[82:83], v[84:85] op_sel:[0,1] op_sel_hi:[1,0]
	v_mov_b32_e32 v88, v67
	v_mov_b32_e32 v104, v78
	;; [unrolled: 1-line block ×3, first 2 shown]
	v_pk_mul_f32 v[86:87], v[76:77], s[0:1] op_sel_hi:[1,0]
	v_pk_add_f32 v[90:91], v[66:67], v[64:65] neg_lo:[0,1] neg_hi:[0,1]
	v_mov_b32_e32 v89, v87
	v_pk_add_f32 v[78:79], v[88:89], v[78:79]
	v_pk_add_f32 v[88:89], v[30:31], v[64:65]
	v_mov_b32_e32 v65, v82
	v_mov_b32_e32 v84, v60
	v_pk_add_f32 v[64:65], v[84:85], v[64:65]
	v_mov_b32_e32 v67, v86
	v_mov_b32_e32 v83, 0x3f4f1bbd
	;; [unrolled: 1-line block ×3, first 2 shown]
	v_pk_add_f32 v[84:85], v[66:67], v[64:65]
	v_pk_add_f32 v[64:65], v[82:83], v[58:59]
	v_mov_b32_e32 v82, v63
	v_pk_add_f32 v[66:67], v[62:63], v[30:31] neg_lo:[0,1] neg_hi:[0,1]
	v_mov_b32_e32 v63, v83
	v_add_f32_e32 v9, v38, v33
	v_pk_add_f32 v[86:87], v[62:63], v[84:85]
	v_pk_mul_f32 v[62:63], v[62:63], v[84:85]
	v_pk_fma_f32 v[102:103], v[88:89], 0.5, v[60:61] op_sel_hi:[1,0,1] neg_lo:[1,0,0] neg_hi:[1,0,0]
	v_pk_add_f32 v[110:111], v[50:51], v[54:55] neg_lo:[0,1] neg_hi:[0,1]
	v_mov_b32_e32 v55, v28
	v_mul_f32_e32 v61, 0.5, v9
	v_mov_b32_e32 v60, v32
	v_mov_b32_e32 v87, v63
	v_mul_f32_e32 v63, 0x3f167918, v79
	v_mov_b32_e32 v62, v30
	v_pk_add_f32 v[60:61], v[54:55], v[60:61] neg_lo:[0,1] neg_hi:[0,1]
	v_pk_add_f32 v[106:107], v[62:63], v[86:87]
	v_pk_add_f32 v[108:109], v[66:67], v[90:91]
	v_sub_f32_e32 v63, v50, v52
	v_mov_b32_e32 v62, v60
	v_pk_mul_f32 v[66:67], v[60:61], s[6:7]
	v_mov_b32_e32 v41, v2
	v_mov_b32_e32 v35, v36
	v_add_f32_e32 v9, v6, v3
	v_mov_b32_e32 v89, v66
	v_fmamk_f32 v88, v63, 0xbf737871, v61
	v_mul_f32_e32 v113, 0x3f737871, v63
	v_pk_mul_f32 v[66:67], v[62:63], s[2:3]
	v_pk_add_f32 v[114:115], v[40:41], v[34:35] neg_lo:[0,1] neg_hi:[0,1]
	v_pk_add_f32 v[116:117], v[34:35], v[40:41] neg_lo:[0,1] neg_hi:[0,1]
	v_mov_b32_e32 v41, v4
	v_mul_f32_e32 v63, 0.5, v9
	v_mov_b32_e32 v62, v2
	v_mov_b32_e32 v112, 0x3f167918
	v_pk_add_f32 v[118:119], v[40:41], v[62:63] neg_lo:[0,1] neg_hi:[0,1]
	v_pk_add_f32 v[90:91], v[60:61], v[112:113]
	v_pk_fma_f32 v[86:87], v[60:61], v[112:113], v[88:89]
	v_sub_f32_e32 v61, v34, v36
	v_mov_b32_e32 v60, v118
	v_pk_mul_f32 v[62:63], v[118:119], s[6:7]
	v_mul_f32_e32 v113, 0x3f737871, v61
	v_mov_b32_e32 v63, v62
	v_fmamk_f32 v62, v61, 0xbf737871, v119
	v_pk_mul_f32 v[60:61], v[60:61], s[2:3]
	v_pk_mul_f32 v[100:101], v[92:93], s[2:3]
	v_pk_mul_f32 v[120:121], v[96:97], s[2:3] op_sel_hi:[1,0]
	s_mov_b32 s3, s0
	v_pk_mul_f32 v[92:93], v[94:95], s[2:3] op_sel_hi:[1,0]
	v_pk_mul_f32 v[80:81], v[80:81], s[6:7] op_sel_hi:[1,0]
	v_pk_add_f32 v[94:95], v[92:93], v[102:103] op_sel:[1,0] op_sel_hi:[0,1]
	v_pk_add_f32 v[92:93], v[102:103], v[92:93] op_sel:[0,1] op_sel_hi:[1,0] neg_lo:[0,1] neg_hi:[0,1]
	v_add_f32_e32 v9, v50, v52
	v_pk_add_f32 v[94:95], v[94:95], v[80:81] op_sel:[0,1] op_sel_hi:[1,0] neg_lo:[0,1] neg_hi:[0,1]
	v_pk_add_f32 v[80:81], v[80:81], v[92:93] op_sel:[1,0] op_sel_hi:[0,1]
	v_mul_f32_e32 v55, 0.5, v9
	v_add_f32_e32 v9, v54, v32
	v_pk_fma_f32 v[92:93], v[108:109], s[0:1], v[94:95] op_sel_hi:[1,0,1]
	v_pk_fma_f32 v[94:95], v[108:109], s[0:1], v[80:81] op_sel_hi:[1,0,1]
	v_mov_b32_e32 v30, v39
	v_mul_f32_e32 v81, 0.5, v9
	v_mov_b32_e32 v80, v33
	v_pk_add_f32 v[102:103], v[30:31], v[54:55] op_sel_hi:[0,1]
	v_pk_add_f32 v[108:109], v[30:31], v[54:55] op_sel_hi:[0,1] neg_lo:[0,1] neg_hi:[0,1]
	v_pk_add_f32 v[54:55], v[28:29], v[52:53] neg_lo:[0,1] neg_hi:[0,1]
	v_pk_add_f32 v[122:123], v[38:39], v[80:81] neg_lo:[0,1] neg_hi:[0,1]
	v_mul_f32_e32 v9, 0x3f737871, v55
	v_pk_mul_f32 v[80:81], v[122:123], s[6:7]
	v_mov_b32_e32 v71, v55
	v_mov_b32_e32 v125, v80
	v_fmamk_f32 v124, v55, 0xbf737871, v123
	v_pk_add_f32 v[80:81], v[118:119], v[112:113]
	v_pk_fma_f32 v[54:55], v[118:119], v[112:113], v[62:63]
	v_mov_b32_e32 v113, v9
	v_pk_add_f32 v[118:119], v[122:123], v[112:113]
	v_add_f32_e32 v9, v110, v111
	v_pk_add_f32 v[118:119], v[118:119], v[124:125] neg_lo:[0,1] neg_hi:[0,1]
	v_pk_fma_f32 v[124:125], v[122:123], v[112:113], v[124:125]
	v_mov_b32_e32 v103, v109
	v_mul_f32_e32 v51, 0x3f737871, v122
	v_mov_b32_e32 v125, v119
	v_mul_f32_e32 v30, 0x3e9e377a, v9
	v_pk_add_f32 v[118:119], v[102:103], v[50:51]
	v_pk_mul_f32 v[70:71], v[70:71], s[0:1]
	v_mov_b32_e32 v103, 0x3e9e377a
	v_mov_b32_e32 v102, v37
	v_pk_add_f32 v[110:111], v[30:31], v[124:125] op_sel_hi:[0,1]
	v_pk_add_f32 v[50:51], v[56:57], v[102:103]
	v_mov_b32_e32 v102, v53
	v_add_f32_e32 v9, v29, v53
	v_pk_add_f32 v[124:125], v[32:33], v[52:53] neg_lo:[0,1] neg_hi:[0,1]
	v_mov_b32_e32 v123, v53
	v_mov_b32_e32 v53, v71
	v_pk_add_f32 v[52:53], v[118:119], v[52:53]
	v_mov_b32_e32 v118, v32
	v_mov_b32_e32 v119, v70
	s_mov_b32 s12, s0
	s_mov_b32 s13, s2
	v_fmac_f32_e32 v109, 0xbf737871, v122
	v_pk_add_f32 v[52:53], v[52:53], v[118:119]
	v_pk_mul_f32 v[118:119], v[92:93], s[12:13]
	v_pk_fma_f32 v[76:77], v[76:77], s[0:1], v[104:105] op_sel_hi:[1,0,1]
	v_sub_f32_e32 v13, v109, v71
	s_mov_b32 s10, 0x3f4f1bbd
	s_mov_b32 s11, s1
	v_pk_fma_f32 v[126:127], v[94:95], s[12:13], v[118:119] op_sel:[0,0,1] op_sel_hi:[1,1,0]
	v_add_f32_e32 v30, v70, v13
	v_pk_mul_f32 v[70:71], v[76:77], s[10:11]
	v_pk_add_f32 v[128:129], v[52:53], v[106:107]
	v_mov_b32_e32 v105, v126
	v_mov_b32_e32 v104, v107
	v_pk_add_f32 v[106:107], v[52:53], v[106:107] neg_lo:[0,1] neg_hi:[0,1]
	v_mov_b32_e32 v52, v53
	v_mov_b32_e32 v53, v110
	;; [unrolled: 1-line block ×3, first 2 shown]
	v_pk_add_f32 v[52:53], v[52:53], v[104:105] neg_lo:[0,1] neg_hi:[0,1]
	v_pk_fma_f32 v[104:105], v[76:77], s[10:11], v[32:33] neg_lo:[1,0,0] neg_hi:[1,0,0]
	v_mad_u32_u24 v27, v8, 40, 0
	v_pk_add_f32 v[70:71], v[30:31], v[104:105]
	v_mul_f32_e32 v13, 0x3f167918, v97
	v_mov_b32_e32 v71, v106
	ds_write2_b64 v27, v[70:71], v[52:53] offset0:2 offset1:3
	v_pk_add_f32 v[52:53], v[44:45], v[48:49] neg_lo:[0,1] neg_hi:[0,1]
	v_pk_add_f32 v[70:71], v[42:43], v[0:1] neg_lo:[0,1] neg_hi:[0,1]
	v_mov_b32_e32 v45, v99
	v_pk_add_f32 v[70:71], v[70:71], v[52:53]
	v_pk_add_f32 v[52:53], v[48:49], v[0:1]
	v_mov_b32_e32 v49, v13
	v_pk_fma_f32 v[52:53], v[52:53], 0.5, v[46:47] op_sel_hi:[1,0,1] neg_lo:[1,0,0] neg_hi:[1,0,0]
	v_fmamk_f32 v47, v73, 0x3f737871, v74
	v_pk_add_f32 v[46:47], v[48:49], v[46:47]
	v_mov_b32_e32 v43, v83
	v_pk_add_f32 v[46:47], v[44:45], v[46:47]
	v_mov_b32_e32 v32, v115
	v_pk_add_f32 v[44:45], v[42:43], v[46:47]
	v_pk_mul_f32 v[42:43], v[42:43], v[46:47]
	v_pk_fma_f32 v[118:119], v[94:95], s[12:13], v[118:119] op_sel:[0,0,1] op_sel_hi:[1,1,0] neg_lo:[0,0,1] neg_hi:[0,0,1]
	v_mov_b32_e32 v42, v0
	v_add_f32_e32 v0, v34, v36
	v_mov_b32_e32 v45, v43
	v_mul_f32_e32 v43, 0x3f167918, v59
	v_mul_f32_e32 v41, 0.5, v0
	v_mov_b32_e32 v0, v7
	v_pk_add_f32 v[42:43], v[42:43], v[44:45]
	v_pk_add_f32 v[44:45], v[0:1], v[40:41] op_sel_hi:[0,1]
	v_pk_add_f32 v[48:49], v[0:1], v[40:41] op_sel_hi:[0,1] neg_lo:[0,1] neg_hi:[0,1]
	v_add_f32_e32 v0, v40, v2
	v_pk_add_f32 v[106:107], v[114:115], v[32:33]
	v_pk_add_f32 v[108:109], v[120:121], v[52:53] op_sel:[1,0] op_sel_hi:[0,1]
	v_pk_mul_f32 v[114:115], v[72:73], s[6:7] op_sel_hi:[1,0]
	v_mul_f32_e32 v97, 0.5, v0
	v_mov_b32_e32 v96, v3
	v_mov_b32_e32 v127, v119
	v_pk_add_f32 v[52:53], v[52:53], v[120:121] op_sel:[0,1] op_sel_hi:[1,0] neg_lo:[0,1] neg_hi:[0,1]
	v_pk_add_f32 v[108:109], v[108:109], v[114:115] op_sel:[0,1] op_sel_hi:[1,0] neg_lo:[0,1] neg_hi:[0,1]
	v_pk_add_f32 v[40:41], v[4:5], v[36:37] neg_lo:[0,1] neg_hi:[0,1]
	v_pk_add_f32 v[96:97], v[6:7], v[96:97] neg_lo:[0,1] neg_hi:[0,1]
	v_mul_f32_e32 v72, 0x3f737871, v73
	v_mov_b32_e32 v73, v100
	v_pk_add_f32 v[130:131], v[110:111], v[126:127]
	v_pk_add_f32 v[114:115], v[114:115], v[52:53] op_sel:[1,0] op_sel_hi:[0,1]
	v_pk_fma_f32 v[52:53], v[70:71], s[0:1], v[108:109] op_sel_hi:[1,0,1]
	v_mov_b32_e32 v108, v111
	v_mov_b32_e32 v109, v30
	;; [unrolled: 1-line block ×4, first 2 shown]
	v_pk_mul_f32 v[98:99], v[96:97], s[6:7]
	v_mul_f32_e32 v113, 0x3f737871, v41
	v_pk_add_f32 v[72:73], v[74:75], v[72:73] neg_lo:[0,1] neg_hi:[0,1]
	v_pk_add_f32 v[74:75], v[74:75], v[100:101] op_sel:[0,1] op_sel_hi:[1,0]
	v_pk_add_f32 v[104:105], v[108:109], v[110:111] neg_lo:[0,1] neg_hi:[0,1]
	v_mov_b32_e32 v107, v41
	v_mov_b32_e32 v99, v98
	v_fmamk_f32 v98, v41, 0xbf737871, v97
	v_pk_add_f32 v[40:41], v[96:97], v[112:113]
	v_mov_b32_e32 v74, v75
	v_mov_b32_e32 v75, v72
	;; [unrolled: 1-line block ×4, first 2 shown]
	ds_write_b64 v27, v[104:105] offset:32
	v_pk_fma_f32 v[104:105], v[96:97], v[112:113], v[98:99]
	v_pk_add_f32 v[40:41], v[40:41], v[98:99] neg_lo:[0,1] neg_hi:[0,1]
	v_add_f32_e32 v0, v116, v117
	v_mov_b32_e32 v45, v49
	v_mul_f32_e32 v35, 0x3f737871, v96
	v_pk_add_f32 v[100:101], v[74:75], v[100:101] op_sel:[0,1] op_sel_hi:[1,0]
	v_pk_add_f32 v[72:73], v[74:75], v[72:73] neg_lo:[0,1] neg_hi:[0,1]
	v_mov_b32_e32 v105, v41
	v_mul_f32_e32 v0, 0x3e9e377a, v0
	v_pk_add_f32 v[34:35], v[44:45], v[34:35]
	v_pk_mul_f32 v[44:45], v[106:107], s[0:1]
	v_mov_b32_e32 v101, v73
	v_fmac_f32_e32 v49, 0xbf737871, v96
	v_pk_add_f32 v[40:41], v[0:1], v[104:105] op_sel_hi:[0,1]
	v_add_f32_e32 v51, v5, v37
	v_mov_b32_e32 v97, v37
	v_mov_b32_e32 v37, v45
	v_pk_fma_f32 v[74:75], v[68:69], s[0:1], v[100:101] op_sel_hi:[1,0,1]
	v_sub_f32_e32 v0, v49, v45
	s_mov_b32 s7, s10
	v_pk_add_f32 v[34:35], v[34:35], v[36:37]
	v_mov_b32_e32 v36, v2
	v_mov_b32_e32 v37, v44
	v_add_f32_e32 v0, v44, v0
	v_pk_mul_f32 v[44:45], v[74:75], s[6:7]
	v_pk_fma_f32 v[70:71], v[70:71], s[0:1], v[114:115] op_sel_hi:[1,0,1]
	v_pk_add_f32 v[34:35], v[34:35], v[36:37]
	v_pk_mul_f32 v[36:37], v[52:53], s[12:13]
	v_mov_b32_e32 v2, v45
	v_pk_fma_f32 v[98:99], v[70:71], s[12:13], v[36:37] op_sel:[0,0,1] op_sel_hi:[1,1,0]
	v_pk_fma_f32 v[44:45], v[74:75], s[6:7], v[2:3] neg_lo:[0,0,1] neg_hi:[0,0,1]
	v_pk_add_f32 v[106:107], v[34:35], v[42:43]
	v_mov_b32_e32 v69, v98
	v_mov_b32_e32 v68, v43
	v_pk_add_f32 v[42:43], v[34:35], v[42:43] neg_lo:[0,1] neg_hi:[0,1]
	v_mov_b32_e32 v34, v35
	v_mov_b32_e32 v35, v40
	v_pk_add_f32 v[48:49], v[0:1], v[44:45]
	v_mad_i32_i24 v62, v26, 40, 0
	v_pk_add_f32 v[34:35], v[34:35], v[68:69] neg_lo:[0,1] neg_hi:[0,1]
	v_mov_b32_e32 v49, v42
	ds_write2_b64 v27, v[128:129], v[130:131] offset1:1
	ds_write2_b64 v62, v[48:49], v[34:35] offset0:2 offset1:3
	v_pk_add_f32 v[34:35], v[38:39], v[28:29]
	v_pk_add_f32 v[42:43], v[38:39], v[28:29] op_sel_hi:[0,1] neg_lo:[0,1] neg_hi:[0,1]
	v_mov_b32_e32 v35, v43
	v_mov_b32_e32 v122, v29
	;; [unrolled: 1-line block ×4, first 2 shown]
	v_fmac_f32_e32 v28, -0.5, v9
	v_pk_fma_f32 v[36:37], v[70:71], s[12:13], v[36:37] op_sel:[0,0,1] op_sel_hi:[1,1,0] neg_lo:[0,0,1] neg_hi:[0,0,1]
	v_pk_add_f32 v[38:39], v[122:123], v[38:39] neg_lo:[0,1] neg_hi:[0,1]
	v_pk_add_f32 v[42:43], v[90:91], v[88:89] neg_lo:[0,1] neg_hi:[0,1]
	v_pk_add_f32 v[34:35], v[34:35], v[124:125]
	v_sub_f32_e32 v2, v28, v66
	s_mov_b32 s13, s0
	v_mov_b32_e32 v87, v43
	v_mov_b32_e32 v32, v33
	v_sub_f32_e32 v33, v2, v67
	v_pk_add_f32 v[42:43], v[34:35], v[102:103]
	v_pk_mul_f32 v[48:49], v[34:35], s[12:13]
	v_mul_f32_e32 v35, 0x3f167918, v85
	v_mov_b32_e32 v34, v31
	v_pk_add_f32 v[30:31], v[82:83], v[78:79]
	v_add_f32_e32 v2, v38, v39
	v_pk_add_f32 v[82:83], v[30:31], v[34:35]
	v_mul_f32_e32 v2, 0x3e9e377a, v2
	s_mov_b32 s6, 0xbf737871
	s_mov_b32 s7, s0
	v_pk_mul_f32 v[30:31], v[94:95], s[2:3]
	s_mov_b32 s11, s10
	v_pk_add_f32 v[84:85], v[2:3], v[86:87] op_sel_hi:[0,1]
	v_pk_fma_f32 v[86:87], v[92:93], s[6:7], v[30:31] op_sel:[0,0,1] op_sel_hi:[1,1,0] neg_lo:[0,0,1] neg_hi:[0,0,1]
	v_mov_b32_e32 v31, v0
	s_movk_i32 s0, 0xffdc
	v_add_f32_e32 v0, v28, v66
	v_mov_b32_e32 v43, v49
	v_pk_fma_f32 v[78:79], v[78:79], s[10:11], v[34:35] neg_lo:[0,0,1] neg_hi:[0,0,1]
	v_mov_b32_e32 v30, v41
	v_mov_b32_e32 v34, v37
	;; [unrolled: 1-line block ×3, first 2 shown]
	v_mad_i32_i24 v65, v8, s0, v27
	v_mad_i32_i24 v9, v26, s0, v62
	v_add_f32_e32 v0, v67, v0
	s_mov_b32 s0, 0xbf167918
	v_mul_f32_e32 v2, 0x3f4f1bbd, v77
	v_pk_add_f32 v[32:33], v[42:43], v[32:33]
	v_pk_add_f32 v[30:31], v[30:31], v[34:35] neg_lo:[0,1] neg_hi:[0,1]
	v_mov_b32_e32 v83, v79
	v_fma_f32 v28, v76, s0, -v2
	v_add_f32_e32 v48, v49, v0
	v_mov_b32_e32 v99, v37
	ds_write_b64 v62, v[30:31] offset:32
	v_pk_add_f32 v[30:31], v[84:85], v[86:87]
	v_pk_add_f32 v[90:91], v[32:33], v[82:83]
	v_mov_b32_e32 v29, v82
	v_mov_b32_e32 v49, v32
	;; [unrolled: 1-line block ×10, first 2 shown]
	v_fmac_f32_e32 v4, -0.5, v51
	v_pk_add_f32 v[104:105], v[40:41], v[98:99]
	v_add_u32_e32 v94, 0x1800, v65
	v_pk_add_f32 v[32:33], v[32:33], v[66:67] neg_lo:[0,1] neg_hi:[0,1]
	v_pk_add_f32 v[66:67], v[48:49], v[28:29]
	v_pk_add_f32 v[76:77], v[48:49], v[28:29] neg_lo:[0,1] neg_hi:[0,1]
	v_pk_add_f32 v[28:29], v[84:85], v[86:87] neg_lo:[0,1] neg_hi:[0,1]
	;; [unrolled: 1-line block ×3, first 2 shown]
	v_sub_f32_e32 v0, v4, v60
	ds_write2_b64 v62, v[106:107], v[104:105] offset1:1
	v_mov_b32_e32 v88, v31
	v_mov_b32_e32 v89, v30
	s_waitcnt lgkmcnt(0)
	s_barrier
	v_lshl_add_u32 v68, v15, 2, 0
	v_lshl_add_u32 v69, v12, 2, 0
	;; [unrolled: 1-line block ×4, first 2 shown]
	v_add_u32_e32 v95, 0x1e00, v65
	v_add_u32_e32 v98, 0x2200, v65
	;; [unrolled: 1-line block ×4, first 2 shown]
	ds_read_b32 v17, v65
	ds_read_b32 v46, v68
	;; [unrolled: 1-line block ×6, first 2 shown]
	v_add_u32_e32 v100, 0x80, v65
	ds_read2_b32 v[40:41], v94 offset0:64 offset1:224
	ds_read2_b32 v[38:39], v95 offset1:160
	ds_read2_b32 v[36:37], v98 offset0:64 offset1:224
	ds_read2_b32 v[34:35], v99 offset1:160
	ds_read2_b32 v[30:31], v19 offset0:64 offset1:224
	ds_read2st64_b32 v[44:45], v100 offset0:7 offset1:12
	ds_read2st64_b32 v[42:43], v100 offset0:17 offset1:22
	s_waitcnt lgkmcnt(0)
	s_barrier
	ds_write_b64 v27, v[28:29] offset:32
	v_pk_add_f32 v[28:29], v[80:81], v[62:63] neg_lo:[0,1] neg_hi:[0,1]
	v_mov_b32_e32 v2, v3
	v_sub_f32_e32 v3, v0, v61
	v_add_f32_e32 v0, v6, v7
	v_mov_b32_e32 v67, v77
	v_mov_b32_e32 v55, v29
	v_mul_f32_e32 v0, 0x3e9e377a, v0
	ds_write2_b64 v27, v[66:67], v[32:33] offset0:2 offset1:3
	v_pk_mul_f32 v[28:29], v[56:57], s[12:13]
	v_pk_add_f32 v[6:7], v[0:1], v[54:55] op_sel_hi:[0,1]
	v_pk_mul_f32 v[32:33], v[70:71], s[2:3]
	v_mul_f32_e32 v49, 0x3f167918, v47
	v_mov_b32_e32 v48, v1
	v_mov_b32_e32 v0, v1
	;; [unrolled: 1-line block ×3, first 2 shown]
	v_pk_fma_f32 v[32:33], v[52:53], s[6:7], v[32:33] op_sel:[0,0,1] op_sel_hi:[1,1,0] neg_lo:[0,0,1] neg_hi:[0,0,1]
	v_pk_add_f32 v[0:1], v[64:65], v[0:1]
	v_pk_fma_f32 v[48:49], v[58:59], s[10:11], v[48:49] neg_lo:[0,0,1] neg_hi:[0,0,1]
	v_pk_add_f32 v[2:3], v[50:51], v[2:3]
	v_pk_add_f32 v[50:51], v[6:7], v[32:33]
	v_mov_b32_e32 v1, v49
	v_mov_b32_e32 v52, v51
	;; [unrolled: 1-line block ×3, first 2 shown]
	v_pk_add_f32 v[50:51], v[2:3], v[0:1]
	v_add_f32_e32 v1, v4, v60
	v_add_f32_e32 v1, v61, v1
	v_mul_f32_e32 v4, 0x3f4f1bbd, v74
	v_fma_f32 v4, v75, s0, -v4
	v_mov_b32_e32 v5, v0
	v_add_f32_e32 v0, v29, v1
	v_mov_b32_e32 v1, v2
	v_mov_b32_e32 v2, v3
	;; [unrolled: 1-line block ×7, first 2 shown]
	v_pk_add_f32 v[2:3], v[2:3], v[28:29] neg_lo:[0,1] neg_hi:[0,1]
	v_pk_add_f32 v[28:29], v[0:1], v[4:5]
	v_pk_add_f32 v[48:49], v[0:1], v[4:5] neg_lo:[0,1] neg_hi:[0,1]
	v_pk_add_f32 v[0:1], v[6:7], v[32:33] neg_lo:[0,1] neg_hi:[0,1]
	s_mov_b32 s3, 0xcccd
	ds_write2_b64 v27, v[90:91], v[88:89] offset1:1
	ds_write_b64 v62, v[0:1] offset:32
	v_mul_u32_u24_sdwa v0, v26, s3 dst_sel:DWORD dst_unused:UNUSED_PAD src0_sel:WORD_0 src1_sel:DWORD
	v_lshrrev_b32_e32 v47, 19, v0
	v_mul_lo_u16_e32 v0, 10, v47
	ds_write2_b64 v62, v[50:51], v[52:53] offset1:1
	v_sub_u16_e32 v50, v26, v0
	v_mul_u32_u24_e32 v0, 9, v50
	v_mov_b32_e32 v29, v49
	v_lshlrev_b32_e32 v27, 3, v0
	ds_write2_b64 v62, v[28:29], v[2:3] offset0:2 offset1:3
	s_waitcnt lgkmcnt(0)
	s_barrier
	global_load_dwordx4 v[52:55], v27, s[4:5]
	global_load_dwordx4 v[74:77], v27, s[4:5] offset:16
	s_movk_i32 s3, 0xcd
	v_mul_lo_u16_sdwa v0, v8, s3 dst_sel:DWORD dst_unused:UNUSED_PAD src0_sel:BYTE_0 src1_sel:DWORD
	v_lshrrev_b16_e32 v61, 11, v0
	v_mul_lo_u16_e32 v0, 10, v61
	v_sub_u16_e32 v64, v8, v0
	v_mov_b32_e32 v0, 9
	v_mul_u32_u24_sdwa v0, v64, v0 dst_sel:DWORD dst_unused:UNUSED_PAD src0_sel:BYTE_0 src1_sel:DWORD
	v_lshlrev_b32_e32 v28, 3, v0
	global_load_dwordx4 v[78:81], v28, s[4:5] offset:32
	global_load_dwordx4 v[82:85], v27, s[4:5] offset:32
	;; [unrolled: 1-line block ×4, first 2 shown]
	global_load_dwordx4 v[0:3], v28, s[4:5]
	global_load_dwordx4 v[4:7], v28, s[4:5] offset:16
	global_load_dwordx2 v[32:33], v27, s[4:5] offset:64
	ds_read2st64_b32 v[56:57], v100 offset0:7 offset1:12
	global_load_dwordx2 v[28:29], v28, s[4:5] offset:64
	ds_read2st64_b32 v[66:67], v100 offset0:17 offset1:22
	ds_read2_b32 v[70:71], v95 offset1:160
	s_waitcnt vmcnt(9) lgkmcnt(2)
	v_mul_f32_e32 v48, v56, v53
	v_fma_f32 v27, v44, v52, -v48
	v_mul_f32_e32 v48, v57, v55
	v_fma_f32 v48, v45, v54, -v48
	v_mul_f32_e32 v45, v45, v55
	v_fmac_f32_e32 v45, v57, v54
	ds_read2_b32 v[54:55], v94 offset0:64 offset1:224
	s_waitcnt vmcnt(8) lgkmcnt(2)
	v_mul_f32_e32 v49, v66, v75
	v_fma_f32 v60, v42, v74, -v49
	v_mul_f32_e32 v49, v67, v77
	v_fma_f32 v49, v43, v76, -v49
	v_mul_f32_e32 v59, v42, v75
	v_mul_f32_e32 v42, v43, v77
	s_waitcnt vmcnt(7) lgkmcnt(0)
	v_mul_f32_e32 v43, v54, v79
	v_fmac_f32_e32 v59, v66, v74
	v_fma_f32 v66, v40, v78, -v43
	v_mul_f32_e32 v43, v40, v79
	v_mul_f32_e32 v40, v70, v81
	;; [unrolled: 1-line block ×3, first 2 shown]
	v_fma_f32 v53, v38, v80, -v40
	v_mul_f32_e32 v57, v38, v81
	s_waitcnt vmcnt(6)
	v_mul_f32_e32 v38, v55, v83
	ds_read2_b32 v[74:75], v98 offset0:64 offset1:224
	v_mul_f32_e32 v40, v39, v85
	v_fmac_f32_e32 v57, v70, v80
	v_fma_f32 v63, v41, v82, -v38
	v_mul_f32_e32 v38, v71, v85
	v_fmac_f32_e32 v40, v71, v84
	ds_read2_b32 v[70:71], v99 offset1:160
	v_fmac_f32_e32 v43, v54, v78
	v_fma_f32 v54, v39, v84, -v38
	s_waitcnt vmcnt(5) lgkmcnt(1)
	v_mul_f32_e32 v38, v74, v87
	v_fma_f32 v39, v36, v86, -v38
	s_waitcnt lgkmcnt(0)
	v_mul_f32_e32 v38, v70, v89
	v_mul_f32_e32 v51, v41, v83
	v_fma_f32 v38, v34, v88, -v38
	v_mul_f32_e32 v58, v34, v89
	s_waitcnt vmcnt(4)
	v_mul_f32_e32 v34, v75, v91
	v_fmac_f32_e32 v44, v56, v52
	v_fmac_f32_e32 v51, v55, v82
	v_mul_f32_e32 v36, v36, v87
	v_fma_f32 v34, v37, v90, -v34
	v_mul_f32_e32 v55, v37, v91
	v_mul_f32_e32 v37, v71, v93
	;; [unrolled: 1-line block ×3, first 2 shown]
	v_fmac_f32_e32 v42, v67, v76
	v_fmac_f32_e32 v36, v74, v86
	;; [unrolled: 1-line block ×4, first 2 shown]
	v_fma_f32 v56, v35, v92, -v37
	v_fmac_f32_e32 v52, v71, v92
	ds_read_b32 v35, v68
	ds_read_b32 v37, v69
	;; [unrolled: 1-line block ×6, first 2 shown]
	s_waitcnt vmcnt(3) lgkmcnt(5)
	v_mul_f32_e32 v74, v35, v1
	v_mul_f32_e32 v75, v46, v1
	v_fma_f32 v74, v46, v0, -v74
	v_fmac_f32_e32 v75, v35, v0
	s_waitcnt lgkmcnt(4)
	v_mul_f32_e32 v0, v37, v3
	v_fma_f32 v35, v25, v2, -v0
	v_mul_f32_e32 v3, v25, v3
	s_waitcnt vmcnt(2) lgkmcnt(3)
	v_mul_f32_e32 v0, v67, v5
	v_fmac_f32_e32 v3, v37, v2
	v_fma_f32 v2, v23, v4, -v0
	ds_read2_b32 v[0:1], v19 offset0:64 offset1:224
	v_mul_f32_e32 v5, v23, v5
	v_fmac_f32_e32 v5, v67, v4
	s_waitcnt lgkmcnt(3)
	v_mul_f32_e32 v4, v70, v7
	v_mul_f32_e32 v67, v21, v7
	v_fma_f32 v4, v21, v6, -v4
	v_fmac_f32_e32 v67, v70, v6
	s_waitcnt vmcnt(0) lgkmcnt(0)
	v_mul_f32_e32 v6, v0, v29
	v_mul_f32_e32 v7, v30, v29
	;; [unrolled: 1-line block ×3, first 2 shown]
	v_fma_f32 v6, v30, v28, -v6
	v_fmac_f32_e32 v7, v0, v28
	v_mul_f32_e32 v0, v1, v33
	v_fmac_f32_e32 v70, v1, v32
	v_sub_f32_e32 v1, v35, v4
	v_sub_f32_e32 v19, v38, v53
	v_add_f32_e32 v1, v1, v19
	v_sub_f32_e32 v19, v2, v66
	v_sub_f32_e32 v21, v6, v39
	v_add_f32_e32 v19, v19, v21
	v_sub_f32_e32 v21, v5, v43
	v_sub_f32_e32 v23, v7, v36
	v_add_f32_e32 v21, v21, v23
	v_mov_b32_e32 v23, 2
	v_add_f32_e32 v46, v43, v36
	v_fma_f32 v0, v31, v32, -v0
	v_lshlrev_b32_sdwa v23, v23, v64 dst_sel:DWORD dst_unused:UNUSED_PAD src0_sel:DWORD src1_sel:BYTE_0
	v_mul_u32_u24_e32 v25, 0x190, v61
	v_add_f32_e32 v32, v66, v39
	v_fma_f32 v76, -0.5, v46, v75
	v_sub_f32_e32 v46, v2, v6
	v_add3_u32 v61, 0, v25, v23
	v_add_f32_e32 v25, v4, v53
	v_fma_f32 v64, -0.5, v32, v74
	v_sub_f32_e32 v32, v5, v7
	v_fmamk_f32 v77, v46, 0xbf737871, v76
	v_sub_f32_e32 v78, v66, v39
	v_add_f32_e32 v23, v17, v35
	v_fma_f32 v25, -0.5, v25, v17
	v_sub_f32_e32 v28, v3, v58
	v_add_f32_e32 v31, v74, v2
	v_fmamk_f32 v33, v32, 0x3f737871, v64
	v_sub_f32_e32 v37, v43, v36
	v_fmac_f32_e32 v77, 0xbf167918, v78
	v_add_f32_e32 v23, v23, v4
	v_fmamk_f32 v29, v28, 0x3f737871, v25
	v_sub_f32_e32 v30, v67, v57
	v_add_f32_e32 v31, v31, v66
	v_fmac_f32_e32 v33, 0x3f167918, v37
	v_fmac_f32_e32 v77, 0x3e9e377a, v21
	v_add_f32_e32 v23, v23, v53
	v_fmac_f32_e32 v29, 0x3f167918, v30
	v_add_f32_e32 v31, v31, v39
	v_fmac_f32_e32 v33, 0x3e9e377a, v19
	v_mul_f32_e32 v79, 0x3f167918, v77
	v_add_f32_e32 v23, v23, v38
	v_fmac_f32_e32 v29, 0x3e9e377a, v1
	v_add_f32_e32 v31, v31, v6
	v_fmac_f32_e32 v79, 0x3f4f1bbd, v33
	v_add_f32_e32 v80, v23, v31
	v_add_f32_e32 v81, v29, v79
	s_barrier
	ds_write2_b32 v61, v80, v81 offset1:10
	v_add_f32_e32 v80, v35, v38
	v_fmac_f32_e32 v17, -0.5, v80
	v_sub_f32_e32 v80, v4, v35
	v_sub_f32_e32 v81, v53, v38
	v_add_f32_e32 v80, v80, v81
	v_fmamk_f32 v81, v30, 0xbf737871, v17
	v_fmac_f32_e32 v17, 0x3f737871, v30
	v_fmac_f32_e32 v81, 0x3f167918, v28
	v_fmac_f32_e32 v17, 0xbf167918, v28
	v_fmac_f32_e32 v81, 0x3e9e377a, v80
	v_fmac_f32_e32 v17, 0x3e9e377a, v80
	v_add_f32_e32 v80, v2, v6
	v_fmac_f32_e32 v74, -0.5, v80
	v_sub_f32_e32 v2, v66, v2
	v_sub_f32_e32 v6, v39, v6
	v_fmamk_f32 v66, v37, 0xbf737871, v74
	v_fmac_f32_e32 v74, 0x3f737871, v37
	v_add_f32_e32 v2, v2, v6
	v_fmac_f32_e32 v66, 0x3f167918, v32
	v_fmac_f32_e32 v74, 0xbf167918, v32
	v_add_f32_e32 v6, v5, v7
	v_fmac_f32_e32 v66, 0x3e9e377a, v2
	v_fmac_f32_e32 v74, 0x3e9e377a, v2
	v_add_f32_e32 v2, v75, v5
	v_fmac_f32_e32 v75, -0.5, v6
	v_fmac_f32_e32 v64, 0xbf737871, v32
	v_sub_f32_e32 v5, v43, v5
	v_sub_f32_e32 v6, v36, v7
	v_fmamk_f32 v80, v78, 0x3f737871, v75
	v_fmac_f32_e32 v64, 0xbf167918, v37
	v_fmac_f32_e32 v76, 0x3f737871, v46
	v_add_f32_e32 v5, v5, v6
	v_fmac_f32_e32 v80, 0xbf167918, v46
	v_fmac_f32_e32 v75, 0xbf737871, v78
	v_fmac_f32_e32 v25, 0xbf737871, v28
	v_fmac_f32_e32 v64, 0x3e9e377a, v19
	v_fmac_f32_e32 v76, 0x3f167918, v78
	v_fmac_f32_e32 v80, 0x3e9e377a, v5
	v_fmac_f32_e32 v75, 0x3f167918, v46
	v_fmac_f32_e32 v25, 0xbf167918, v30
	v_fmac_f32_e32 v76, 0x3e9e377a, v21
	v_mul_f32_e32 v19, 0x3f4f1bbd, v64
	v_fmac_f32_e32 v75, 0x3e9e377a, v5
	v_mul_f32_e32 v5, 0x3f737871, v80
	v_fmac_f32_e32 v25, 0x3e9e377a, v1
	v_fma_f32 v19, v76, s1, -v19
	v_fmac_f32_e32 v5, 0x3e9e377a, v66
	v_mul_f32_e32 v6, 0x3e9e377a, v74
	v_sub_f32_e32 v1, v23, v31
	v_add_f32_e32 v21, v25, v19
	v_fma_f32 v6, v75, s2, -v6
	v_add_f32_e32 v39, v81, v5
	ds_write2_b32 v61, v21, v1 offset0:40 offset1:50
	v_sub_f32_e32 v1, v29, v79
	v_sub_f32_e32 v5, v81, v5
	ds_write2_b32 v61, v1, v5 offset0:60 offset1:70
	v_sub_f32_e32 v1, v17, v6
	v_sub_f32_e32 v5, v25, v19
	;; [unrolled: 3-line block ×3, first 2 shown]
	v_add_f32_e32 v82, v17, v6
	v_add_f32_e32 v1, v1, v5
	v_sub_f32_e32 v5, v60, v63
	v_sub_f32_e32 v6, v0, v34
	v_add_f32_e32 v5, v5, v6
	v_sub_f32_e32 v6, v59, v51
	v_sub_f32_e32 v17, v70, v55
	v_add_f32_e32 v31, v51, v55
	ds_write2_b32 v61, v39, v82 offset0:20 offset1:30
	v_add_f32_e32 v6, v6, v17
	v_mul_u32_u24_e32 v17, 0x190, v47
	v_lshlrev_b32_e32 v19, 2, v50
	v_add_f32_e32 v29, v63, v34
	v_fma_f32 v82, -0.5, v31, v44
	v_sub_f32_e32 v31, v60, v0
	v_add3_u32 v78, 0, v17, v19
	v_add_f32_e32 v19, v49, v54
	v_fma_f32 v79, -0.5, v29, v27
	v_sub_f32_e32 v29, v59, v70
	v_fmamk_f32 v83, v31, 0xbf737871, v82
	v_sub_f32_e32 v32, v63, v34
	v_add_f32_e32 v17, v13, v48
	v_fma_f32 v19, -0.5, v19, v13
	v_sub_f32_e32 v21, v45, v52
	v_add_f32_e32 v28, v27, v60
	v_fmamk_f32 v81, v29, 0x3f737871, v79
	v_sub_f32_e32 v30, v51, v55
	v_fmac_f32_e32 v83, 0xbf167918, v32
	v_add_f32_e32 v17, v17, v49
	v_fmamk_f32 v23, v21, 0x3f737871, v19
	v_sub_f32_e32 v25, v42, v40
	v_add_f32_e32 v28, v28, v63
	v_fmac_f32_e32 v81, 0x3f167918, v30
	v_fmac_f32_e32 v83, 0x3e9e377a, v6
	v_add_f32_e32 v17, v17, v54
	v_fmac_f32_e32 v23, 0x3f167918, v25
	v_add_f32_e32 v28, v28, v34
	v_fmac_f32_e32 v81, 0x3e9e377a, v5
	v_mul_f32_e32 v37, 0x3f167918, v83
	v_add_f32_e32 v17, v17, v56
	v_fmac_f32_e32 v23, 0x3e9e377a, v1
	v_add_f32_e32 v28, v28, v0
	v_fmac_f32_e32 v37, 0x3f4f1bbd, v81
	v_add_f32_e32 v39, v17, v28
	v_add_f32_e32 v46, v23, v37
	ds_write2_b32 v78, v39, v46 offset1:10
	v_add_f32_e32 v39, v48, v56
	v_fmac_f32_e32 v13, -0.5, v39
	v_sub_f32_e32 v39, v49, v48
	v_sub_f32_e32 v46, v54, v56
	v_add_f32_e32 v39, v39, v46
	v_fmamk_f32 v46, v25, 0xbf737871, v13
	v_fmac_f32_e32 v13, 0x3f737871, v25
	v_fmac_f32_e32 v46, 0x3f167918, v21
	;; [unrolled: 1-line block ×5, first 2 shown]
	v_add_f32_e32 v39, v60, v0
	v_fmac_f32_e32 v27, -0.5, v39
	v_sub_f32_e32 v39, v63, v60
	v_sub_f32_e32 v0, v34, v0
	v_fmamk_f32 v63, v30, 0xbf737871, v27
	v_fmac_f32_e32 v27, 0x3f737871, v30
	v_add_f32_e32 v0, v39, v0
	v_fmac_f32_e32 v63, 0x3f167918, v29
	v_fmac_f32_e32 v27, 0xbf167918, v29
	v_add_f32_e32 v34, v59, v70
	v_fmac_f32_e32 v63, 0x3e9e377a, v0
	v_fmac_f32_e32 v27, 0x3e9e377a, v0
	v_add_f32_e32 v0, v44, v59
	v_fmac_f32_e32 v44, -0.5, v34
	v_fmac_f32_e32 v79, 0xbf737871, v29
	v_sub_f32_e32 v34, v51, v59
	v_sub_f32_e32 v39, v55, v70
	v_fmamk_f32 v84, v32, 0x3f737871, v44
	v_fmac_f32_e32 v79, 0xbf167918, v30
	v_fmac_f32_e32 v82, 0x3f737871, v31
	v_add_f32_e32 v34, v34, v39
	v_fmac_f32_e32 v84, 0xbf167918, v31
	v_fmac_f32_e32 v44, 0xbf737871, v32
	;; [unrolled: 1-line block ×9, first 2 shown]
	v_mul_f32_e32 v5, 0x3f4f1bbd, v79
	v_fmac_f32_e32 v44, 0x3e9e377a, v34
	v_mul_f32_e32 v34, 0x3f737871, v84
	v_fmac_f32_e32 v19, 0x3e9e377a, v1
	v_fma_f32 v5, v82, s1, -v5
	v_fmac_f32_e32 v34, 0x3e9e377a, v63
	v_mul_f32_e32 v39, 0x3e9e377a, v27
	v_sub_f32_e32 v1, v17, v28
	v_add_f32_e32 v6, v19, v5
	v_fma_f32 v39, v44, s2, -v39
	ds_write2_b32 v78, v6, v1 offset0:40 offset1:50
	v_sub_f32_e32 v1, v23, v37
	v_sub_f32_e32 v6, v46, v34
	ds_write2_b32 v78, v1, v6 offset0:60 offset1:70
	v_sub_f32_e32 v1, v13, v39
	v_sub_f32_e32 v5, v19, v5
	;; [unrolled: 3-line block ×3, first 2 shown]
	v_add_f32_e32 v5, v5, v6
	v_add_f32_e32 v6, v71, v3
	;; [unrolled: 1-line block ×3, first 2 shown]
	v_mul_f32_e32 v85, 0xbf167918, v33
	v_add_f32_e32 v6, v6, v57
	v_fmac_f32_e32 v85, 0x3f4f1bbd, v77
	v_add_f32_e32 v77, v6, v58
	v_add_f32_e32 v6, v67, v57
	v_sub_f32_e32 v1, v35, v38
	v_fma_f32 v86, -0.5, v6, v71
	v_sub_f32_e32 v4, v4, v53
	v_add_f32_e32 v2, v2, v43
	v_fmamk_f32 v87, v1, 0xbf737871, v86
	v_add_f32_e32 v2, v2, v36
	v_fmac_f32_e32 v87, 0xbf167918, v4
	v_add_f32_e32 v2, v2, v7
	v_fmac_f32_e32 v87, 0x3e9e377a, v5
	v_add_f32_e32 v47, v46, v34
	v_add_f32_e32 v50, v13, v39
	;; [unrolled: 1-line block ×4, first 2 shown]
	ds_write2_b32 v78, v47, v50 offset0:20 offset1:30
	s_waitcnt lgkmcnt(0)
	s_barrier
	v_lshl_add_u32 v13, v20, 2, 0
	v_add_u32_e32 v23, 0x1600, v65
	v_add_u32_e32 v21, 0x2500, v65
	;; [unrolled: 1-line block ×5, first 2 shown]
	v_lshl_add_u32 v43, v14, 2, 0
	v_add_u32_e32 v47, 0x2000, v65
	ds_read_b32 v59, v9
	ds_read_b32 v46, v43
	;; [unrolled: 1-line block ×5, first 2 shown]
	ds_read_b32 v60, v65 offset:12160
	ds_read2st64_b32 v[6:7], v65 offset1:15
	ds_read2_b32 v[38:39], v23 offset0:32 offset1:192
	ds_read2_b32 v[30:31], v21 offset0:32 offset1:192
	;; [unrolled: 1-line block ×6, first 2 shown]
	s_waitcnt lgkmcnt(0)
	s_barrier
	ds_write2_b32 v61, v89, v90 offset1:10
	v_add_f32_e32 v89, v3, v58
	v_fmac_f32_e32 v71, -0.5, v89
	v_sub_f32_e32 v3, v67, v3
	v_sub_f32_e32 v57, v57, v58
	v_add_f32_e32 v3, v3, v57
	v_fmamk_f32 v57, v4, 0x3f737871, v71
	v_fmac_f32_e32 v71, 0xbf737871, v4
	v_fmac_f32_e32 v86, 0x3f737871, v1
	;; [unrolled: 1-line block ×5, first 2 shown]
	v_mul_f32_e32 v1, 0x3f4f1bbd, v76
	v_fmac_f32_e32 v57, 0x3e9e377a, v3
	v_fmac_f32_e32 v71, 0x3e9e377a, v3
	v_mul_f32_e32 v3, 0xbf737871, v66
	v_fmac_f32_e32 v86, 0x3e9e377a, v5
	v_fma_f32 v1, v64, s0, -v1
	v_fmac_f32_e32 v3, 0x3e9e377a, v80
	v_mul_f32_e32 v58, 0x3e9e377a, v75
	v_sub_f32_e32 v2, v77, v2
	v_add_f32_e32 v4, v86, v1
	v_fma_f32 v58, v74, s6, -v58
	v_add_f32_e32 v66, v57, v3
	ds_write2_b32 v61, v4, v2 offset0:40 offset1:50
	v_sub_f32_e32 v2, v87, v85
	v_sub_f32_e32 v3, v57, v3
	ds_write2_b32 v61, v2, v3 offset0:60 offset1:70
	v_sub_f32_e32 v2, v71, v58
	v_sub_f32_e32 v1, v86, v1
	ds_write2_b32 v61, v2, v1 offset0:80 offset1:90
	v_sub_f32_e32 v1, v48, v56
	v_add_f32_e32 v48, v42, v40
	v_add_f32_e32 v5, v41, v45
	v_fma_f32 v48, -0.5, v48, v41
	v_sub_f32_e32 v2, v49, v54
	v_sub_f32_e32 v3, v45, v42
	;; [unrolled: 1-line block ×3, first 2 shown]
	v_add_f32_e32 v0, v0, v51
	v_add_f32_e32 v5, v5, v42
	v_fmamk_f32 v49, v1, 0xbf737871, v48
	v_add_f32_e32 v3, v3, v4
	v_add_f32_e32 v0, v0, v55
	v_mul_f32_e32 v4, 0xbf167918, v81
	v_add_f32_e32 v5, v5, v40
	v_fmac_f32_e32 v49, 0xbf167918, v2
	v_add_f32_e32 v0, v0, v70
	v_fmac_f32_e32 v4, 0x3f4f1bbd, v83
	;; [unrolled: 2-line block ×3, first 2 shown]
	v_add_f32_e32 v67, v71, v58
	v_add_f32_e32 v51, v5, v0
	;; [unrolled: 1-line block ×3, first 2 shown]
	ds_write2_b32 v61, v66, v67 offset0:20 offset1:30
	ds_write2_b32 v78, v51, v54 offset1:10
	v_add_f32_e32 v51, v45, v52
	v_fmac_f32_e32 v41, -0.5, v51
	v_sub_f32_e32 v42, v42, v45
	v_sub_f32_e32 v40, v40, v52
	v_add_f32_e32 v40, v42, v40
	v_fmamk_f32 v42, v2, 0x3f737871, v41
	v_fmac_f32_e32 v41, 0xbf737871, v2
	v_fmac_f32_e32 v42, 0xbf167918, v1
	;; [unrolled: 1-line block ×6, first 2 shown]
	v_mul_f32_e32 v40, 0xbf737871, v63
	v_mul_f32_e32 v44, 0x3e9e377a, v44
	v_fmac_f32_e32 v48, 0x3f167918, v2
	v_mul_f32_e32 v1, 0x3f4f1bbd, v82
	v_fmac_f32_e32 v40, 0x3e9e377a, v84
	v_fma_f32 v27, v27, s6, -v44
	v_fmac_f32_e32 v48, 0x3e9e377a, v3
	v_fma_f32 v1, v79, s0, -v1
	v_add_f32_e32 v44, v42, v40
	v_add_f32_e32 v45, v41, v27
	v_sub_f32_e32 v0, v5, v0
	v_add_f32_e32 v5, v48, v1
	s_movk_i32 s0, 0x64
	ds_write2_b32 v78, v44, v45 offset0:20 offset1:30
	v_sub_f32_e32 v2, v49, v4
	v_sub_f32_e32 v3, v42, v40
	;; [unrolled: 1-line block ×4, first 2 shown]
	ds_write2_b32 v78, v5, v0 offset0:40 offset1:50
	ds_write2_b32 v78, v2, v3 offset0:60 offset1:70
	;; [unrolled: 1-line block ×3, first 2 shown]
	v_add_u32_e32 v0, 0xffffff9c, v8
	v_cmp_gt_u32_e64 s[0:1], s0, v8
	v_mov_b32_e32 v5, 0
	s_waitcnt lgkmcnt(0)
	v_cndmask_b32_e64 v27, v0, v8, s[0:1]
	v_mul_i32_i24_e32 v4, 3, v27
	v_lshl_add_u64 v[40:41], v[4:5], 3, s[4:5]
	s_barrier
	global_load_dwordx4 v[0:3], v[40:41], off offset:720
	v_lshrrev_b16_e32 v4, 2, v12
	v_mul_u32_u24_e32 v4, 0x147b, v4
	v_lshrrev_b32_e32 v4, 17, v4
	v_mul_lo_u16_e32 v42, 0x64, v4
	v_sub_u16_e32 v42, v12, v42
	v_mul_u32_u24_e32 v44, 3, v42
	v_lshlrev_b32_e32 v51, 3, v44
	v_lshrrev_b16_e32 v44, 2, v14
	global_load_dwordx4 v[54:57], v51, s[4:5] offset:720
	v_mul_u32_u24_e32 v44, 0x147b, v44
	v_lshrrev_b32_e32 v52, 17, v44
	v_mul_lo_u16_e32 v44, 0x64, v52
	v_sub_u16_e32 v58, v14, v44
	v_mul_u32_u24_e32 v44, 3, v58
	v_lshlrev_b32_e32 v61, 3, v44
	global_load_dwordx4 v[74:77], v61, s[4:5] offset:720
	v_lshrrev_b16_e32 v44, 2, v15
	v_mul_u32_u24_e32 v44, 0x147b, v44
	v_lshrrev_b32_e32 v63, 17, v44
	v_mul_lo_u16_e32 v44, 0x64, v63
	v_sub_u16_e32 v64, v15, v44
	v_mul_u32_u24_e32 v44, 3, v64
	v_lshlrev_b32_e32 v89, 3, v44
	global_load_dwordx4 v[78:81], v89, s[4:5] offset:720
	v_lshrrev_b16_e32 v44, 2, v26
	v_mul_u32_u24_e32 v44, 0x147b, v44
	v_lshrrev_b32_e32 v90, 17, v44
	v_mul_lo_u16_e32 v44, 0x64, v90
	v_sub_u16_e32 v91, v26, v44
	v_mul_u32_u24_e32 v44, 3, v91
	v_lshlrev_b32_e32 v92, 3, v44
	global_load_dwordx4 v[82:85], v92, s[4:5] offset:720
	global_load_dwordx2 v[44:45], v[40:41], off offset:736
	global_load_dwordx2 v[48:49], v92, s[4:5] offset:736
	global_load_dwordx2 v[66:67], v89, s[4:5] offset:736
	;; [unrolled: 1-line block ×4, first 2 shown]
	ds_read_b32 v51, v13
	ds_read2_b32 v[40:41], v23 offset0:32 offset1:192
	ds_read_b32 v61, v43
	ds_read_b32 v89, v9
	;; [unrolled: 1-line block ×3, first 2 shown]
	s_movk_i32 s0, 0x63
	v_cmp_lt_u32_e64 s[0:1], s0, v8
	v_lshlrev_b32_e32 v27, 2, v27
	s_movk_i32 s2, 0x640
	v_mul_u32_u24_e32 v4, 0x640, v4
	s_waitcnt vmcnt(9) lgkmcnt(4)
	v_mul_f32_e32 v93, v51, v1
	v_fma_f32 v93, v88, v0, -v93
	v_mul_f32_e32 v88, v88, v1
	v_fmac_f32_e32 v88, v51, v0
	s_waitcnt lgkmcnt(3)
	v_mul_f32_e32 v0, v41, v3
	v_fma_f32 v51, v39, v2, -v0
	ds_read2_b32 v[0:1], v47 offset0:32 offset1:192
	v_mul_f32_e32 v39, v39, v3
	v_fmac_f32_e32 v39, v41, v2
	s_waitcnt vmcnt(8)
	v_mul_f32_e32 v2, v40, v55
	v_fma_f32 v41, v38, v54, -v2
	s_waitcnt lgkmcnt(0)
	v_mul_f32_e32 v2, v1, v57
	v_mul_f32_e32 v55, v38, v55
	v_fma_f32 v38, v37, v56, -v2
	ds_read2_b32 v[2:3], v19 offset0:32 offset1:192
	v_fmac_f32_e32 v55, v40, v54
	v_mul_f32_e32 v54, v37, v57
	v_fmac_f32_e32 v54, v1, v56
	s_waitcnt vmcnt(7)
	v_mul_f32_e32 v56, v36, v77
	v_mul_f32_e32 v1, v0, v77
	v_fmac_f32_e32 v56, v0, v76
	s_waitcnt lgkmcnt(0)
	v_mul_f32_e32 v0, v3, v75
	v_fma_f32 v37, v36, v76, -v1
	v_fma_f32 v36, v35, v74, -v0
	ds_read2_b32 v[0:1], v53 offset0:32 offset1:192
	v_mul_f32_e32 v57, v35, v75
	v_fmac_f32_e32 v57, v3, v74
	s_waitcnt vmcnt(6)
	v_mul_f32_e32 v74, v34, v79
	v_mul_f32_e32 v3, v2, v79
	v_fmac_f32_e32 v74, v2, v78
	s_waitcnt lgkmcnt(0)
	v_mul_f32_e32 v2, v1, v81
	v_fma_f32 v35, v34, v78, -v3
	v_fma_f32 v34, v33, v80, -v2
	ds_read2st64_b32 v[2:3], v65 offset1:15
	v_mul_f32_e32 v75, v33, v81
	v_fmac_f32_e32 v75, v1, v80
	s_waitcnt vmcnt(5)
	v_mul_f32_e32 v1, v0, v85
	v_mul_f32_e32 v76, v32, v85
	v_fma_f32 v40, v32, v84, -v1
	v_fmac_f32_e32 v76, v0, v84
	ds_read2_b32 v[0:1], v21 offset0:32 offset1:192
	s_waitcnt lgkmcnt(1)
	v_mul_f32_e32 v32, v3, v83
	v_fma_f32 v77, v7, v82, -v32
	ds_read2_b32 v[32:33], v17 offset0:32 offset1:192
	v_mul_f32_e32 v78, v7, v83
	v_fmac_f32_e32 v78, v3, v82
	s_waitcnt vmcnt(4) lgkmcnt(1)
	v_mul_f32_e32 v3, v0, v45
	v_fma_f32 v3, v30, v44, -v3
	v_mul_f32_e32 v7, v30, v45
	s_waitcnt vmcnt(3)
	v_mul_f32_e32 v30, v31, v49
	v_fmac_f32_e32 v7, v0, v44
	v_mul_f32_e32 v0, v1, v49
	v_fmac_f32_e32 v30, v1, v48
	s_waitcnt vmcnt(2) lgkmcnt(0)
	v_mul_f32_e32 v1, v32, v67
	v_fma_f32 v1, v28, v66, -v1
	v_mul_f32_e32 v28, v28, v67
	v_fmac_f32_e32 v28, v32, v66
	ds_read_b32 v32, v65 offset:12160
	ds_read_b32 v44, v68
	v_fma_f32 v0, v31, v48, -v0
	s_waitcnt vmcnt(1)
	v_mul_f32_e32 v31, v33, v71
	v_fma_f32 v31, v29, v70, -v31
	v_mul_f32_e32 v29, v29, v71
	s_waitcnt vmcnt(0)
	v_mul_f32_e32 v45, v60, v87
	v_mov_b32_e32 v48, 0x640
	v_fmac_f32_e32 v29, v33, v70
	s_waitcnt lgkmcnt(1)
	v_mul_f32_e32 v33, v32, v87
	v_fmac_f32_e32 v45, v32, v86
	v_sub_f32_e32 v32, v6, v51
	v_cndmask_b32_e64 v48, 0, v48, s[0:1]
	v_sub_f32_e32 v3, v93, v3
	v_fma_f32 v6, v6, 2.0, -v32
	v_add3_u32 v48, 0, v48, v27
	v_sub_f32_e32 v7, v88, v7
	v_fma_f32 v27, v93, 2.0, -v3
	v_sub_f32_e32 v27, v6, v27
	v_sub_f32_e32 v49, v32, v7
	v_fma_f32 v6, v6, 2.0, -v27
	v_fma_f32 v32, v32, 2.0, -v49
	v_add_u32_e32 v51, 0x200, v48
	s_waitcnt lgkmcnt(0)
	s_barrier
	ds_write2_b32 v48, v6, v32 offset1:100
	ds_write2_b32 v51, v27, v49 offset0:72 offset1:172
	v_mul_u32_u24_e32 v6, 0x640, v90
	v_lshlrev_b32_e32 v27, 2, v91
	v_add3_u32 v49, 0, v6, v27
	v_sub_f32_e32 v6, v59, v40
	v_sub_f32_e32 v0, v77, v0
	v_fma_f32 v27, v59, 2.0, -v6
	v_sub_f32_e32 v59, v78, v30
	v_fma_f32 v30, v77, 2.0, -v0
	v_sub_f32_e32 v30, v27, v30
	v_sub_f32_e32 v32, v6, v59
	v_fma_f32 v27, v27, 2.0, -v30
	v_fma_f32 v6, v6, 2.0, -v32
	s_mov_b32 s0, 0x5040100
	ds_write2_b32 v49, v27, v6 offset1:100
	v_perm_b32 v6, v63, v52, s0
	v_fma_f32 v33, v60, v86, -v33
	v_add_u32_e32 v60, 0x200, v49
	v_pk_mul_lo_u16 v6, v6, s2 op_sel_hi:[1,0]
	ds_write2_b32 v60, v30, v32 offset0:72 offset1:172
	v_lshlrev_b32_e32 v27, 2, v64
	v_lshrrev_b32_e32 v30, 16, v6
	v_add3_u32 v52, 0, v30, v27
	v_sub_f32_e32 v27, v50, v34
	v_sub_f32_e32 v1, v35, v1
	v_fma_f32 v30, v50, 2.0, -v27
	v_sub_f32_e32 v50, v74, v28
	v_fma_f32 v28, v35, 2.0, -v1
	v_sub_f32_e32 v28, v30, v28
	v_sub_f32_e32 v32, v27, v50
	v_fma_f32 v30, v30, 2.0, -v28
	v_fma_f32 v27, v27, 2.0, -v32
	ds_write2_b32 v52, v30, v27 offset1:100
	v_and_b32_e32 v6, 0xffc0, v6
	v_lshlrev_b32_e32 v27, 2, v58
	v_add3_u32 v58, 0, v6, v27
	v_sub_f32_e32 v6, v46, v37
	v_add_u32_e32 v63, 0x200, v52
	v_fma_f32 v27, v46, 2.0, -v6
	v_sub_f32_e32 v46, v36, v31
	ds_write2_b32 v63, v28, v32 offset0:72 offset1:172
	v_sub_f32_e32 v64, v57, v29
	v_fma_f32 v28, v36, 2.0, -v46
	v_sub_f32_e32 v28, v27, v28
	v_sub_f32_e32 v29, v6, v64
	v_fma_f32 v27, v27, 2.0, -v28
	v_fma_f32 v6, v6, 2.0, -v29
	ds_write2_b32 v58, v27, v6 offset1:100
	v_lshlrev_b32_e32 v6, 2, v42
	v_add3_u32 v4, 0, v4, v6
	v_sub_f32_e32 v6, v25, v38
	v_sub_f32_e32 v42, v41, v33
	v_add_u32_e32 v66, 0x200, v58
	v_fma_f32 v25, v25, 2.0, -v6
	v_sub_f32_e32 v45, v55, v45
	v_fma_f32 v27, v41, 2.0, -v42
	ds_write2_b32 v66, v28, v29 offset0:72 offset1:172
	v_sub_f32_e32 v27, v25, v27
	v_sub_f32_e32 v28, v6, v45
	v_fma_f32 v25, v25, 2.0, -v27
	v_fma_f32 v6, v6, 2.0, -v28
	ds_write2_b32 v4, v25, v6 offset1:100
	v_sub_f32_e32 v6, v2, v39
	v_fma_f32 v2, v2, 2.0, -v6
	v_fma_f32 v7, v88, 2.0, -v7
	v_sub_f32_e32 v67, v2, v7
	v_add_f32_e32 v3, v6, v3
	v_add_u32_e32 v41, 0x200, v4
	v_fma_f32 v2, v2, 2.0, -v67
	v_fma_f32 v70, v6, 2.0, -v3
	ds_write2_b32 v41, v27, v28 offset0:72 offset1:172
	s_waitcnt lgkmcnt(0)
	s_barrier
	ds_read_b32 v84, v9
	ds_read_b32 v27, v43
	;; [unrolled: 1-line block ×5, first 2 shown]
	ds_read_b32 v86, v65 offset:12160
	ds_read2st64_b32 v[6:7], v65 offset1:15
	ds_read2_b32 v[38:39], v23 offset0:32 offset1:192
	ds_read2_b32 v[30:31], v21 offset0:32 offset1:192
	;; [unrolled: 1-line block ×6, first 2 shown]
	s_waitcnt lgkmcnt(0)
	s_barrier
	ds_write2_b32 v48, v2, v70 offset1:100
	ds_write2_b32 v51, v67, v3 offset0:72 offset1:172
	v_sub_f32_e32 v3, v89, v76
	v_fma_f32 v2, v78, 2.0, -v59
	v_fma_f32 v48, v89, 2.0, -v3
	v_sub_f32_e32 v2, v48, v2
	v_add_f32_e32 v0, v3, v0
	v_fma_f32 v48, v48, 2.0, -v2
	v_fma_f32 v3, v3, 2.0, -v0
	ds_write2_b32 v49, v48, v3 offset1:100
	ds_write2_b32 v60, v2, v0 offset0:72 offset1:172
	v_sub_f32_e32 v2, v44, v75
	v_fma_f32 v0, v74, 2.0, -v50
	v_fma_f32 v3, v44, 2.0, -v2
	v_sub_f32_e32 v0, v3, v0
	v_add_f32_e32 v1, v2, v1
	v_fma_f32 v3, v3, 2.0, -v0
	v_fma_f32 v2, v2, 2.0, -v1
	;; [unrolled: 9-line block ×4, first 2 shown]
	ds_write2_b32 v4, v2, v1 offset1:100
	ds_write2_b32 v41, v0, v3 offset0:72 offset1:172
	v_mul_u32_u24_e32 v0, 3, v8
	v_lshlrev_b32_e32 v4, 3, v0
	s_waitcnt lgkmcnt(0)
	s_barrier
	global_load_dwordx4 v[0:3], v4, s[4:5] offset:3120
	s_movk_i32 s0, 0x2000
	v_lshl_add_u64 v[44:45], s[4:5], 0, v[4:5]
	v_add_co_u32_e64 v48, s[0:1], s0, v44
	v_add_u32_e32 v41, 0xffffffb0, v8
	s_nop 0
	v_addc_co_u32_e64 v49, s[0:1], 0, v45, s[0:1]
	global_load_dwordx4 v[48:51], v[48:49], off offset:688
	s_movk_i32 s0, 0x1000
	v_add_co_u32_e64 v58, s[0:1], s0, v44
	s_waitcnt vmcnt(1)
	v_mul_f32_e32 v46, v85, v1
	v_addc_co_u32_e64 v59, s[0:1], 0, v45, s[0:1]
	global_load_dwordx4 v[54:57], v[58:59], off offset:944
	global_load_dwordx2 v[66:67], v4, s[4:5] offset:3136
	s_movk_i32 s0, 0x50
	v_cmp_gt_u32_e64 s[0:1], s0, v8
	v_mul_i32_i24_e32 v4, 3, v26
	v_lshl_add_u64 v[70:71], v[4:5], 3, s[4:5]
	v_cndmask_b32_e64 v41, v41, v15, s[0:1]
	v_lshl_add_u32 v4, v41, 1, v41
	v_lshl_add_u64 v[78:79], v[4:5], 3, s[4:5]
	global_load_dwordx4 v[58:61], v[78:79], off offset:3120
	global_load_dwordx4 v[74:77], v[70:71], off offset:3120
	global_load_dwordx2 v[80:81], v[70:71], off offset:3136
	global_load_dwordx2 v[82:83], v[78:79], off offset:3136
	s_mov_b64 s[0:1], 0x13b0
	v_lshl_add_u64 v[70:71], v[44:45], 0, s[0:1]
	global_load_dwordx2 v[70:71], v[70:71], off offset:16
	s_mov_b64 s[0:1], 0x22b0
	v_lshl_add_u64 v[44:45], v[44:45], 0, s[0:1]
	global_load_dwordx2 v[44:45], v[44:45], off offset:16
	ds_read_b32 v4, v13
	ds_read2_b32 v[78:79], v23 offset0:32 offset1:192
	ds_read_b32 v23, v43
	ds_read_b32 v63, v9
	;; [unrolled: 1-line block ×3, first 2 shown]
	s_waitcnt lgkmcnt(4)
	v_mul_f32_e32 v42, v4, v1
	v_fma_f32 v42, v85, v0, -v42
	v_fmac_f32_e32 v46, v4, v0
	s_waitcnt lgkmcnt(3)
	v_mul_f32_e32 v0, v79, v3
	v_fma_f32 v4, v39, v2, -v0
	ds_read2_b32 v[0:1], v47 offset0:32 offset1:192
	v_mul_f32_e32 v39, v39, v3
	v_fmac_f32_e32 v39, v79, v2
	s_waitcnt vmcnt(8)
	v_mul_f32_e32 v2, v78, v49
	v_fma_f32 v52, v38, v48, -v2
	s_waitcnt lgkmcnt(0)
	v_mul_f32_e32 v2, v1, v51
	v_mul_f32_e32 v79, v38, v49
	v_fma_f32 v38, v37, v50, -v2
	ds_read2_b32 v[2:3], v19 offset0:32 offset1:192
	v_mul_f32_e32 v37, v37, v51
	v_fmac_f32_e32 v37, v1, v50
	v_fmac_f32_e32 v79, v78, v48
	v_sub_f32_e32 v4, v6, v4
	v_fma_f32 v6, v6, 2.0, -v4
	s_movk_i32 s0, 0x4f
	v_cmp_lt_u32_e64 s[0:1], s0, v8
	s_waitcnt vmcnt(7)
	v_mul_f32_e32 v1, v0, v57
	v_fma_f32 v19, v36, v56, -v1
	v_mul_f32_e32 v36, v36, v57
	v_fmac_f32_e32 v36, v0, v56
	s_waitcnt lgkmcnt(0)
	v_mul_f32_e32 v0, v3, v55
	v_fma_f32 v48, v35, v54, -v0
	ds_read2_b32 v[0:1], v53 offset0:32 offset1:192
	v_mul_f32_e32 v51, v35, v55
	s_waitcnt vmcnt(5)
	v_mul_f32_e32 v56, v34, v59
	v_fmac_f32_e32 v51, v3, v54
	v_mul_f32_e32 v3, v2, v59
	v_fmac_f32_e32 v56, v2, v58
	s_waitcnt lgkmcnt(0)
	v_mul_f32_e32 v2, v1, v61
	v_fma_f32 v35, v34, v58, -v3
	v_fma_f32 v34, v33, v60, -v2
	v_mul_f32_e32 v57, v33, v61
	ds_read2st64_b32 v[2:3], v65 offset1:15
	v_fmac_f32_e32 v57, v1, v60
	s_waitcnt vmcnt(4)
	v_mul_f32_e32 v1, v0, v77
	v_mul_f32_e32 v58, v32, v77
	v_fma_f32 v49, v32, v76, -v1
	v_fmac_f32_e32 v58, v0, v76
	ds_read2_b32 v[0:1], v21 offset0:32 offset1:192
	s_waitcnt lgkmcnt(1)
	v_mul_f32_e32 v32, v3, v75
	v_fma_f32 v50, v7, v74, -v32
	v_mul_f32_e32 v7, v7, v75
	ds_read2_b32 v[32:33], v17 offset0:32 offset1:192
	v_fmac_f32_e32 v7, v3, v74
	s_waitcnt lgkmcnt(1)
	v_mul_f32_e32 v3, v0, v67
	v_fma_f32 v3, v30, v66, -v3
	v_mul_f32_e32 v30, v30, v67
	v_fmac_f32_e32 v30, v0, v66
	s_waitcnt vmcnt(3)
	v_mul_f32_e32 v0, v1, v81
	v_sub_f32_e32 v59, v42, v3
	v_fma_f32 v0, v31, v80, -v0
	v_mul_f32_e32 v31, v31, v81
	v_fma_f32 v3, v42, 2.0, -v59
	v_fmac_f32_e32 v31, v1, v80
	s_waitcnt vmcnt(2) lgkmcnt(0)
	v_mul_f32_e32 v1, v32, v83
	s_waitcnt vmcnt(1)
	v_mul_f32_e32 v54, v33, v71
	v_sub_f32_e32 v3, v6, v3
	v_fma_f32 v1, v28, v82, -v1
	v_mul_f32_e32 v28, v28, v83
	v_fma_f32 v54, v29, v70, -v54
	v_mul_f32_e32 v29, v29, v71
	v_fma_f32 v6, v6, 2.0, -v3
	v_fmac_f32_e32 v28, v32, v82
	ds_read_b32 v32, v65 offset:12160
	v_fmac_f32_e32 v29, v33, v70
	ds_read_b32 v33, v68
	s_waitcnt lgkmcnt(0)
	s_barrier
	ds_write_b32 v65, v6
	v_sub_f32_e32 v6, v46, v30
	v_sub_f32_e32 v30, v4, v6
	v_fma_f32 v4, v4, 2.0, -v30
	ds_write_b32 v65, v4 offset:1600
	ds_write_b32 v65, v3 offset:3200
	;; [unrolled: 1-line block ×3, first 2 shown]
	v_sub_f32_e32 v3, v84, v49
	v_sub_f32_e32 v60, v50, v0
	v_fma_f32 v4, v84, 2.0, -v3
	v_fma_f32 v0, v50, 2.0, -v60
	v_sub_f32_e32 v0, v4, v0
	v_fma_f32 v4, v4, 2.0, -v0
	ds_write_b32 v9, v4
	v_sub_f32_e32 v4, v7, v31
	v_sub_f32_e32 v30, v3, v4
	v_fma_f32 v3, v3, 2.0, -v30
	ds_write_b32 v9, v3 offset:1600
	ds_write_b32 v9, v0 offset:3200
	;; [unrolled: 1-line block ×3, first 2 shown]
	v_mov_b32_e32 v0, 0x1900
	v_cndmask_b32_e64 v0, 0, v0, s[0:1]
	v_lshlrev_b32_e32 v3, 2, v41
	v_add3_u32 v31, 0, v0, v3
	v_sub_f32_e32 v0, v40, v34
	v_fma_f32 v3, v40, 2.0, -v0
	v_sub_f32_e32 v40, v35, v1
	v_fma_f32 v1, v35, 2.0, -v40
	;; [unrolled: 2-line block ×3, first 2 shown]
	v_sub_f32_e32 v41, v56, v28
	ds_write_b32 v31, v3
	v_sub_f32_e32 v3, v0, v41
	s_waitcnt vmcnt(0)
	v_mul_f32_e32 v55, v32, v45
	v_fma_f32 v0, v0, 2.0, -v3
	v_fma_f32 v55, v86, v44, -v55
	ds_write_b32 v31, v0 offset:1600
	ds_write_b32 v31, v1 offset:3200
	;; [unrolled: 1-line block ×3, first 2 shown]
	v_sub_f32_e32 v0, v27, v19
	v_fma_f32 v1, v27, 2.0, -v0
	v_sub_f32_e32 v19, v48, v54
	v_sub_f32_e32 v27, v25, v38
	;; [unrolled: 1-line block ×3, first 2 shown]
	v_fma_f32 v3, v48, 2.0, -v19
	v_fma_f32 v25, v25, 2.0, -v27
	;; [unrolled: 1-line block ×3, first 2 shown]
	v_mul_f32_e32 v45, v86, v45
	v_sub_f32_e32 v3, v1, v3
	v_sub_f32_e32 v28, v25, v28
	v_lshl_add_u32 v30, v8, 2, 0
	v_fmac_f32_e32 v45, v32, v44
	v_fma_f32 v1, v1, 2.0, -v3
	v_fma_f32 v25, v25, 2.0, -v28
	v_add_u32_e32 v66, 0x1a00, v30
	ds_write2_b32 v66, v1, v25 offset0:16 offset1:176
	v_sub_f32_e32 v25, v51, v29
	v_sub_f32_e32 v67, v79, v45
	;; [unrolled: 1-line block ×4, first 2 shown]
	v_fma_f32 v0, v0, 2.0, -v1
	v_fma_f32 v27, v27, 2.0, -v29
	v_add_u32_e32 v70, 0x2000, v30
	v_add_u32_e32 v71, 0x2c00, v30
	v_sub_f32_e32 v39, v2, v39
	ds_write2_b32 v70, v0, v27 offset0:32 offset1:192
	ds_write2_b32 v71, v1, v29 offset0:64 offset1:224
	v_fma_f32 v0, v2, 2.0, -v39
	v_fma_f32 v1, v46, 2.0, -v6
	;; [unrolled: 1-line block ×3, first 2 shown]
	v_sub_f32_e32 v7, v0, v1
	v_add_f32_e32 v59, v39, v59
	v_add_u32_e32 v27, 0x2600, v30
	v_fma_f32 v74, v0, 2.0, -v7
	v_fma_f32 v39, v39, 2.0, -v59
	ds_write2_b32 v27, v3, v28 offset0:48 offset1:208
	s_waitcnt lgkmcnt(0)
	s_barrier
	v_lshl_add_u32 v3, v22, 2, 0
	v_lshl_add_u32 v1, v24, 2, 0
	ds_read2st64_b32 v[54:55], v65 offset1:25
	ds_read2_b32 v[48:49], v53 offset0:32 offset1:192
	ds_read2_b32 v[44:45], v47 offset0:32 offset1:192
	;; [unrolled: 1-line block ×3, first 2 shown]
	ds_read_b32 v32, v72
	ds_read2_b32 v[28:29], v17 offset0:32 offset1:192
	ds_read_b32 v30, v3
	ds_read_b32 v46, v43
	;; [unrolled: 1-line block ×8, first 2 shown]
	ds_read_b32 v2, v65 offset:12160
	s_waitcnt lgkmcnt(0)
	s_barrier
	ds_write_b32 v65, v74
	ds_write_b32 v65, v39 offset:1600
	ds_write_b32 v65, v7 offset:3200
	;; [unrolled: 1-line block ×3, first 2 shown]
	v_sub_f32_e32 v7, v63, v58
	v_fma_f32 v39, v63, 2.0, -v7
	v_sub_f32_e32 v4, v39, v4
	v_fma_f32 v39, v39, 2.0, -v4
	ds_write_b32 v9, v39
	v_add_f32_e32 v39, v7, v60
	v_fma_f32 v7, v7, 2.0, -v39
	ds_write_b32 v9, v7 offset:1600
	ds_write_b32 v9, v4 offset:3200
	;; [unrolled: 1-line block ×3, first 2 shown]
	v_sub_f32_e32 v7, v33, v57
	v_fma_f32 v4, v56, 2.0, -v41
	v_fma_f32 v9, v33, 2.0, -v7
	v_sub_f32_e32 v4, v9, v4
	v_fma_f32 v9, v9, 2.0, -v4
	ds_write_b32 v31, v9
	v_add_f32_e32 v9, v7, v40
	v_fma_f32 v7, v7, 2.0, -v9
	ds_write_b32 v31, v7 offset:1600
	ds_write_b32 v31, v4 offset:3200
	;; [unrolled: 1-line block ×3, first 2 shown]
	v_fma_f32 v4, v51, 2.0, -v25
	v_sub_f32_e32 v9, v23, v36
	v_sub_f32_e32 v25, v64, v37
	v_fma_f32 v7, v79, 2.0, -v67
	v_fma_f32 v23, v23, 2.0, -v9
	;; [unrolled: 1-line block ×3, first 2 shown]
	v_sub_f32_e32 v4, v23, v4
	v_sub_f32_e32 v7, v31, v7
	v_fma_f32 v23, v23, 2.0, -v4
	v_fma_f32 v31, v31, 2.0, -v7
	ds_write2_b32 v66, v23, v31 offset0:16 offset1:176
	v_add_f32_e32 v19, v9, v19
	v_add_f32_e32 v23, v25, v61
	v_fma_f32 v9, v9, 2.0, -v19
	v_fma_f32 v25, v25, 2.0, -v23
	ds_write2_b32 v70, v9, v25 offset0:32 offset1:192
	ds_write2_b32 v27, v4, v7 offset0:48 offset1:208
	;; [unrolled: 1-line block ×3, first 2 shown]
	s_waitcnt lgkmcnt(0)
	s_barrier
	s_and_saveexec_b64 s[0:1], vcc
	s_cbranch_execz .LBB0_15
; %bb.14:
	v_mov_b32_e32 v9, v5
	v_lshl_add_u64 v[36:37], v[8:9], 3, s[4:5]
	s_movk_i32 s0, 0x3000
	v_add_co_u32_e32 v36, vcc, s0, v36
	v_mov_b32_e32 v27, v5
	s_nop 0
	v_addc_co_u32_e32 v37, vcc, 0, v37, vcc
	global_load_dwordx2 v[58:59], v[36:37], off offset:432
	v_mul_i32_i24_e32 v9, 0xffffffdc, v26
	v_lshl_add_u64 v[26:27], v[26:27], 3, s[4:5]
	v_add_co_u32_e32 v26, vcc, s0, v26
	v_mov_b32_e32 v4, v14
	s_nop 0
	v_addc_co_u32_e32 v27, vcc, 0, v27, vcc
	global_load_dwordx2 v[60:61], v[26:27], off offset:432
	ds_read_b32 v36, v65 offset:12160
	ds_read2_b32 v[40:41], v17 offset0:32 offset1:192
	ds_read2_b32 v[26:27], v21 offset0:32 offset1:192
	ds_read_b32 v39, v13
	ds_read2_b32 v[56:57], v47 offset0:32 offset1:192
	ds_read_b32 v31, v3
	ds_read_b32 v47, v43
	;; [unrolled: 1-line block ×6, first 2 shown]
	ds_read2_b32 v[66:67], v53 offset0:32 offset1:192
	ds_read2st64_b32 v[64:65], v65 offset1:25
	v_lshl_add_u64 v[72:73], v[4:5], 3, s[4:5]
	v_mov_b32_e32 v4, v15
	v_mov_b32_e32 v25, v5
	;; [unrolled: 1-line block ×7, first 2 shown]
	v_lshl_add_u64 v[4:5], v[4:5], 3, s[4:5]
	v_add_co_u32_e32 v4, vcc, s0, v4
	v_mad_u64_u32 v[68:69], s[6:7], s8, v8, 0
	s_nop 0
	v_addc_co_u32_e32 v5, vcc, 0, v5, vcc
	global_load_dwordx2 v[4:5], v[4:5], off offset:432
	v_add_u32_e32 v3, 0x640, v8
	v_lshl_add_u64 v[24:25], v[24:25], 3, s[4:5]
	v_lshl_add_u64 v[18:19], v[18:19], 3, s[4:5]
	;; [unrolled: 1-line block ×6, first 2 shown]
	v_add_u32_e32 v9, v62, v9
	v_mov_b32_e32 v62, v69
	v_mad_u64_u32 v[74:75], s[4:5], s8, v3, 0
	v_mad_u64_u32 v[62:63], s[4:5], s9, v8, v[62:63]
	v_mov_b32_e32 v78, v75
	v_add_co_u32_e32 v72, vcc, s0, v72
	v_mov_b32_e32 v69, v62
	v_mad_u64_u32 v[62:63], s[4:5], s9, v3, v[78:79]
	v_addc_co_u32_e32 v73, vcc, 0, v73, vcc
	v_mov_b32_e32 v75, v62
	ds_read_b32 v1, v1
	ds_read_b32 v53, v9
	global_load_dwordx2 v[62:63], v[72:73], off offset:432
	v_lshl_add_u64 v[72:73], v[74:75], 3, v[10:11]
	s_waitcnt lgkmcnt(2)
	v_mov_b32_e32 v74, v65
	v_mov_b32_e32 v14, v55
	;; [unrolled: 1-line block ×4, first 2 shown]
	v_lshl_add_u64 v[68:69], v[68:69], 3, v[10:11]
	v_add_u32_e32 v3, 0x6e0, v8
	v_add_u32_e32 v37, 0xa0, v8
	v_mad_u64_u32 v[76:77], s[4:5], s8, v37, 0
	v_mov_b32_e32 v80, v77
	v_add_co_u32_e32 v12, vcc, s0, v12
	s_mov_b32 s3, 0x51eb851f
	s_nop 0
	v_addc_co_u32_e32 v13, vcc, 0, v13, vcc
	s_waitcnt vmcnt(3)
	v_pk_mul_f32 v[64:65], v[58:59], v[74:75] op_sel_hi:[1,0]
	s_nop 0
	v_pk_fma_f32 v[14:15], v[14:15], v[58:59], v[64:65] op_sel:[0,0,1] op_sel_hi:[1,1,0] neg_lo:[0,0,1] neg_hi:[0,0,1]
	v_pk_fma_f32 v[58:59], v[70:71], v[58:59], v[64:65] op_sel:[0,0,1] op_sel_hi:[0,1,0]
	v_mov_b32_e32 v15, v59
	v_pk_add_f32 v[14:15], v[54:55], v[14:15] neg_lo:[0,1] neg_hi:[0,1]
	s_nop 0
	v_pk_fma_f32 v[54:55], v[54:55], 2.0, v[14:15] op_sel_hi:[1,0,1] neg_lo:[0,0,1] neg_hi:[0,0,1]
	global_store_dwordx2 v[68:69], v[54:55], off
	global_store_dwordx2 v[72:73], v[14:15], off
	v_mad_u64_u32 v[54:55], s[4:5], s8, v3, 0
	v_mov_b32_e32 v58, v55
	v_mad_u64_u32 v[58:59], s[4:5], s9, v3, v[58:59]
	v_mov_b32_e32 v55, v58
	s_waitcnt vmcnt(4)
	v_pk_mul_f32 v[58:59], v[60:61], v[66:67] op_sel_hi:[1,0]
	v_mad_u64_u32 v[14:15], s[4:5], s9, v37, v[80:81]
	v_pk_fma_f32 v[64:65], v[48:49], v[60:61], v[58:59] op_sel:[0,0,1] op_sel_hi:[1,1,0] neg_lo:[0,0,1] neg_hi:[0,0,1]
	v_pk_fma_f32 v[58:59], v[48:49], v[60:61], v[58:59] op_sel:[0,0,1] op_sel_hi:[0,1,0]
	v_mov_b32_e32 v65, v59
	v_mov_b32_e32 v77, v14
	s_waitcnt lgkmcnt(0)
	v_pk_add_f32 v[58:59], v[52:53], v[64:65] neg_lo:[0,1] neg_hi:[0,1]
	v_lshl_add_u64 v[14:15], v[76:77], 3, v[10:11]
	v_pk_fma_f32 v[52:53], v[52:53], 2.0, v[58:59] op_sel_hi:[1,0,1] neg_lo:[0,0,1] neg_hi:[0,0,1]
	v_add_u32_e32 v3, 0x140, v8
	v_lshl_add_u64 v[54:55], v[54:55], 3, v[10:11]
	global_store_dwordx2 v[14:15], v[52:53], off
	global_store_dwordx2 v[54:55], v[58:59], off
	v_mad_u64_u32 v[14:15], s[4:5], s8, v3, 0
	v_mov_b32_e32 v48, v15
	v_mad_u64_u32 v[52:53], s[4:5], s9, v3, v[48:49]
	global_load_dwordx2 v[12:13], v[12:13], off offset:432
	v_add_u32_e32 v3, 0x780, v8
	v_mov_b32_e32 v15, v52
	v_mad_u64_u32 v[52:53], s[4:5], s8, v3, 0
	v_mov_b32_e32 v48, v53
	v_mad_u64_u32 v[54:55], s[4:5], s9, v3, v[48:49]
	v_mov_b32_e32 v58, v67
	v_mov_b32_e32 v53, v54
	;; [unrolled: 1-line block ×4, first 2 shown]
	s_waitcnt vmcnt(6)
	v_pk_mul_f32 v[58:59], v[4:5], v[58:59] op_sel_hi:[1,0]
	v_lshl_add_u64 v[14:15], v[14:15], 3, v[10:11]
	v_pk_fma_f32 v[48:49], v[48:49], v[4:5], v[58:59] op_sel:[0,0,1] op_sel_hi:[1,1,0] neg_lo:[0,0,1] neg_hi:[0,0,1]
	v_pk_fma_f32 v[4:5], v[54:55], v[4:5], v[58:59] op_sel:[0,0,1] op_sel_hi:[0,1,0]
	v_mov_b32_e32 v49, v5
	v_pk_add_f32 v[4:5], v[50:51], v[48:49] neg_lo:[0,1] neg_hi:[0,1]
	v_lshl_add_u64 v[52:53], v[52:53], 3, v[10:11]
	v_pk_fma_f32 v[48:49], v[50:51], 2.0, v[4:5] op_sel_hi:[1,0,1] neg_lo:[0,0,1] neg_hi:[0,0,1]
	global_store_dwordx2 v[14:15], v[48:49], off
	global_store_dwordx2 v[52:53], v[4:5], off
	v_add_co_u32_e32 v4, vcc, s0, v20
	v_add_u32_e32 v3, 0x1e0, v8
	s_nop 0
	v_addc_co_u32_e32 v5, vcc, 0, v21, vcc
	global_load_dwordx2 v[4:5], v[4:5], off offset:432
	v_mad_u64_u32 v[14:15], s[4:5], s8, v3, 0
	v_mov_b32_e32 v20, v15
	v_mad_u64_u32 v[20:21], s[4:5], s9, v3, v[20:21]
	v_add_u32_e32 v3, 0x820, v8
	v_mov_b32_e32 v15, v20
	v_mad_u64_u32 v[20:21], s[4:5], s8, v3, 0
	v_mov_b32_e32 v48, v21
	v_mad_u64_u32 v[48:49], s[4:5], s9, v3, v[48:49]
	v_mov_b32_e32 v21, v48
	s_waitcnt vmcnt(8)
	v_pk_mul_f32 v[48:49], v[62:63], v[56:57] op_sel_hi:[1,0]
	v_lshl_add_u64 v[14:15], v[14:15], 3, v[10:11]
	v_pk_fma_f32 v[50:51], v[44:45], v[62:63], v[48:49] op_sel:[0,0,1] op_sel_hi:[1,1,0] neg_lo:[0,0,1] neg_hi:[0,0,1]
	v_pk_fma_f32 v[48:49], v[44:45], v[62:63], v[48:49] op_sel:[0,0,1] op_sel_hi:[0,1,0]
	v_mov_b32_e32 v51, v49
	v_pk_add_f32 v[48:49], v[46:47], v[50:51] neg_lo:[0,1] neg_hi:[0,1]
	v_add_u32_e32 v3, 0x280, v8
	v_pk_fma_f32 v[46:47], v[46:47], 2.0, v[48:49] op_sel_hi:[1,0,1] neg_lo:[0,0,1] neg_hi:[0,0,1]
	v_lshl_add_u64 v[20:21], v[20:21], 3, v[10:11]
	global_store_dwordx2 v[14:15], v[46:47], off
	global_store_dwordx2 v[20:21], v[48:49], off
	v_mad_u64_u32 v[14:15], s[4:5], s8, v3, 0
	v_add_co_u32_e32 v16, vcc, s0, v16
	v_mov_b32_e32 v20, v15
	s_nop 0
	v_addc_co_u32_e32 v17, vcc, 0, v17, vcc
	v_mad_u64_u32 v[20:21], s[4:5], s9, v3, v[20:21]
	v_add_u32_e32 v3, 0x8c0, v8
	global_load_dwordx2 v[16:17], v[16:17], off offset:432
	v_mov_b32_e32 v15, v20
	v_mad_u64_u32 v[20:21], s[4:5], s8, v3, 0
	v_mov_b32_e32 v44, v21
	v_mad_u64_u32 v[46:47], s[4:5], s9, v3, v[44:45]
	v_mov_b32_e32 v48, v57
	v_mov_b32_e32 v21, v46
	;; [unrolled: 1-line block ×4, first 2 shown]
	v_add_u32_e32 v3, 0x320, v8
	v_mul_hi_u32 v9, v3, s3
	v_add_co_u32_e32 v22, vcc, s0, v22
	v_lshrrev_b32_e32 v9, 9, v9
	v_lshl_add_u64 v[14:15], v[14:15], 3, v[10:11]
	v_addc_co_u32_e32 v23, vcc, 0, v23, vcc
	global_load_dwordx2 v[22:23], v[22:23], off offset:432
	s_waitcnt vmcnt(7)
	v_pk_mul_f32 v[48:49], v[12:13], v[48:49] op_sel_hi:[1,0]
	v_mad_u32_u24 v3, v9, s2, v3
	v_pk_fma_f32 v[44:45], v[44:45], v[12:13], v[48:49] op_sel:[0,0,1] op_sel_hi:[1,1,0] neg_lo:[0,0,1] neg_hi:[0,0,1]
	v_pk_fma_f32 v[12:13], v[46:47], v[12:13], v[48:49] op_sel:[0,0,1] op_sel_hi:[0,1,0]
	v_mov_b32_e32 v45, v13
	v_pk_add_f32 v[12:13], v[42:43], v[44:45] neg_lo:[0,1] neg_hi:[0,1]
	v_lshl_add_u64 v[20:21], v[20:21], 3, v[10:11]
	v_pk_fma_f32 v[42:43], v[42:43], 2.0, v[12:13] op_sel_hi:[1,0,1] neg_lo:[0,0,1] neg_hi:[0,0,1]
	global_store_dwordx2 v[14:15], v[42:43], off
	global_store_dwordx2 v[20:21], v[12:13], off
	v_mad_u64_u32 v[12:13], s[4:5], s8, v3, 0
	v_mov_b32_e32 v14, v13
	v_mad_u64_u32 v[14:15], s[4:5], s9, v3, v[14:15]
	v_add_u32_e32 v3, 0x640, v3
	v_mov_b32_e32 v13, v14
	v_mad_u64_u32 v[14:15], s[4:5], s8, v3, 0
	v_mov_b32_e32 v20, v15
	v_mad_u64_u32 v[20:21], s[4:5], s9, v3, v[20:21]
	v_mov_b32_e32 v15, v20
	v_lshl_add_u64 v[12:13], v[12:13], 3, v[10:11]
	v_lshl_add_u64 v[14:15], v[14:15], 3, v[10:11]
	v_add_u32_e32 v3, 0x3c0, v8
	s_waitcnt vmcnt(6)
	v_pk_mul_f32 v[20:21], v[4:5], v[26:27] op_sel_hi:[1,0]
	s_nop 0
	v_pk_fma_f32 v[42:43], v[34:35], v[4:5], v[20:21] op_sel:[0,0,1] op_sel_hi:[1,1,0] neg_lo:[0,0,1] neg_hi:[0,0,1]
	v_pk_fma_f32 v[4:5], v[34:35], v[4:5], v[20:21] op_sel:[0,0,1] op_sel_hi:[0,1,0]
	v_mov_b32_e32 v43, v5
	v_pk_add_f32 v[4:5], v[38:39], v[42:43] neg_lo:[0,1] neg_hi:[0,1]
	v_mov_b32_e32 v26, v27
	v_pk_fma_f32 v[20:21], v[38:39], 2.0, v[4:5] op_sel_hi:[1,0,1] neg_lo:[0,0,1] neg_hi:[0,0,1]
	global_store_dwordx2 v[12:13], v[20:21], off
	v_add_co_u32_e32 v12, vcc, s0, v18
	global_store_dwordx2 v[14:15], v[4:5], off
	s_nop 0
	v_addc_co_u32_e32 v13, vcc, 0, v19, vcc
	global_load_dwordx2 v[12:13], v[12:13], off offset:432
	v_add_co_u32_e32 v24, vcc, s0, v24
	v_mul_hi_u32 v4, v3, s3
	s_nop 0
	v_addc_co_u32_e32 v25, vcc, 0, v25, vcc
	global_load_dwordx2 v[24:25], v[24:25], off offset:432
	v_lshrrev_b32_e32 v4, 9, v4
	v_mad_u32_u24 v3, v4, s2, v3
	v_mad_u64_u32 v[4:5], s[4:5], s8, v3, 0
	v_mov_b32_e32 v14, v5
	v_mad_u64_u32 v[14:15], s[4:5], s9, v3, v[14:15]
	v_add_u32_e32 v3, 0x640, v3
	v_mov_b32_e32 v5, v14
	v_mad_u64_u32 v[14:15], s[4:5], s8, v3, 0
	v_mov_b32_e32 v18, v15
	v_mad_u64_u32 v[18:19], s[4:5], s9, v3, v[18:19]
	v_mov_b32_e32 v15, v18
	v_mov_b32_e32 v18, v35
	;; [unrolled: 1-line block ×3, first 2 shown]
	s_waitcnt vmcnt(7)
	v_pk_mul_f32 v[26:27], v[16:17], v[26:27] op_sel_hi:[1,0]
	v_lshl_add_u64 v[4:5], v[4:5], 3, v[10:11]
	v_pk_fma_f32 v[18:19], v[18:19], v[16:17], v[26:27] op_sel:[0,0,1] op_sel_hi:[1,1,0] neg_lo:[0,0,1] neg_hi:[0,0,1]
	v_pk_fma_f32 v[16:17], v[20:21], v[16:17], v[26:27] op_sel:[0,0,1] op_sel_hi:[0,1,0]
	v_mov_b32_e32 v19, v17
	v_pk_add_f32 v[16:17], v[32:33], v[18:19] neg_lo:[0,1] neg_hi:[0,1]
	v_add_u32_e32 v3, 0x460, v8
	v_pk_fma_f32 v[18:19], v[32:33], 2.0, v[16:17] op_sel_hi:[1,0,1] neg_lo:[0,0,1] neg_hi:[0,0,1]
	v_lshl_add_u64 v[14:15], v[14:15], 3, v[10:11]
	global_store_dwordx2 v[4:5], v[18:19], off
	global_store_dwordx2 v[14:15], v[16:17], off
	v_mad_u64_u32 v[4:5], s[0:1], s8, v3, 0
	v_mov_b32_e32 v14, v5
	v_mad_u64_u32 v[14:15], s[0:1], s9, v3, v[14:15]
	v_add_u32_e32 v3, 0xaa0, v8
	v_mov_b32_e32 v5, v14
	v_mad_u64_u32 v[14:15], s[0:1], s8, v3, 0
	v_mov_b32_e32 v16, v15
	v_mad_u64_u32 v[16:17], s[0:1], s9, v3, v[16:17]
	v_mov_b32_e32 v15, v16
	s_waitcnt vmcnt(8)
	v_pk_mul_f32 v[16:17], v[22:23], v[40:41] op_sel_hi:[1,0]
	v_lshl_add_u64 v[4:5], v[4:5], 3, v[10:11]
	v_pk_fma_f32 v[18:19], v[28:29], v[22:23], v[16:17] op_sel:[0,0,1] op_sel_hi:[1,1,0] neg_lo:[0,0,1] neg_hi:[0,0,1]
	v_pk_fma_f32 v[16:17], v[28:29], v[22:23], v[16:17] op_sel:[0,0,1] op_sel_hi:[0,1,0]
	v_mov_b32_e32 v19, v17
	v_pk_add_f32 v[16:17], v[30:31], v[18:19] neg_lo:[0,1] neg_hi:[0,1]
	v_or_b32_e32 v3, 0x500, v8
	v_pk_fma_f32 v[18:19], v[30:31], 2.0, v[16:17] op_sel_hi:[1,0,1] neg_lo:[0,0,1] neg_hi:[0,0,1]
	v_lshl_add_u64 v[14:15], v[14:15], 3, v[10:11]
	global_store_dwordx2 v[4:5], v[18:19], off
	global_store_dwordx2 v[14:15], v[16:17], off
	v_mad_u64_u32 v[4:5], s[0:1], s8, v3, 0
	v_mov_b32_e32 v14, v5
	v_mad_u64_u32 v[14:15], s[0:1], s9, v3, v[14:15]
	v_add_u32_e32 v3, 0xb40, v8
	v_mov_b32_e32 v5, v14
	v_mad_u64_u32 v[14:15], s[0:1], s8, v3, 0
	v_mov_b32_e32 v16, v15
	v_mad_u64_u32 v[16:17], s[0:1], s9, v3, v[16:17]
	v_mov_b32_e32 v20, v41
	v_mov_b32_e32 v15, v16
	;; [unrolled: 1-line block ×4, first 2 shown]
	v_lshl_add_u64 v[4:5], v[4:5], 3, v[10:11]
	v_add_u32_e32 v3, 0x5a0, v8
	v_lshl_add_u64 v[14:15], v[14:15], 3, v[10:11]
	s_waitcnt vmcnt(5)
	v_pk_mul_f32 v[20:21], v[12:13], v[20:21] op_sel_hi:[1,0]
	s_nop 0
	v_pk_fma_f32 v[16:17], v[16:17], v[12:13], v[20:21] op_sel:[0,0,1] op_sel_hi:[1,1,0] neg_lo:[0,0,1] neg_hi:[0,0,1]
	v_pk_fma_f32 v[12:13], v[18:19], v[12:13], v[20:21] op_sel:[0,0,1] op_sel_hi:[0,1,0]
	v_mov_b32_e32 v17, v13
	v_pk_add_f32 v[12:13], v[6:7], v[16:17] neg_lo:[0,1] neg_hi:[0,1]
	s_nop 0
	v_pk_fma_f32 v[6:7], v[6:7], 2.0, v[12:13] op_sel_hi:[1,0,1] neg_lo:[0,0,1] neg_hi:[0,0,1]
	global_store_dwordx2 v[4:5], v[6:7], off
	global_store_dwordx2 v[14:15], v[12:13], off
	v_mul_hi_u32 v4, v3, s3
	v_lshrrev_b32_e32 v4, 9, v4
	v_mad_u32_u24 v3, v4, s2, v3
	v_mad_u64_u32 v[4:5], s[0:1], s8, v3, 0
	v_mov_b32_e32 v6, v5
	v_mad_u64_u32 v[6:7], s[0:1], s9, v3, v[6:7]
	v_add_u32_e32 v3, 0x640, v3
	v_mov_b32_e32 v5, v6
	v_mad_u64_u32 v[6:7], s[0:1], s8, v3, 0
	v_mov_b32_e32 v8, v7
	v_mad_u64_u32 v[8:9], s[0:1], s9, v3, v[8:9]
	v_mov_b32_e32 v7, v8
	s_waitcnt vmcnt(6)
	v_pk_mul_f32 v[8:9], v[24:25], v[36:37] op_sel_hi:[1,0]
	v_lshl_add_u64 v[4:5], v[4:5], 3, v[10:11]
	v_lshl_add_u64 v[6:7], v[6:7], 3, v[10:11]
	v_pk_fma_f32 v[10:11], v[2:3], v[24:25], v[8:9] op_sel:[0,0,1] op_sel_hi:[1,1,0] neg_lo:[0,0,1] neg_hi:[0,0,1]
	v_pk_fma_f32 v[2:3], v[2:3], v[24:25], v[8:9] op_sel:[0,0,1] op_sel_hi:[0,1,0]
	v_mov_b32_e32 v11, v3
	v_pk_add_f32 v[2:3], v[0:1], v[10:11] neg_lo:[0,1] neg_hi:[0,1]
	s_nop 0
	v_pk_fma_f32 v[0:1], v[0:1], 2.0, v[2:3] op_sel_hi:[1,0,1] neg_lo:[0,0,1] neg_hi:[0,0,1]
	global_store_dwordx2 v[4:5], v[0:1], off
	global_store_dwordx2 v[6:7], v[2:3], off
.LBB0_15:
	s_endpgm
	.section	.rodata,"a",@progbits
	.p2align	6, 0x0
	.amdhsa_kernel fft_rtc_fwd_len3200_factors_10_10_4_4_2_wgs_160_tpt_160_halfLds_sp_ip_CI_sbrr_dirReg
		.amdhsa_group_segment_fixed_size 0
		.amdhsa_private_segment_fixed_size 0
		.amdhsa_kernarg_size 88
		.amdhsa_user_sgpr_count 2
		.amdhsa_user_sgpr_dispatch_ptr 0
		.amdhsa_user_sgpr_queue_ptr 0
		.amdhsa_user_sgpr_kernarg_segment_ptr 1
		.amdhsa_user_sgpr_dispatch_id 0
		.amdhsa_user_sgpr_kernarg_preload_length 0
		.amdhsa_user_sgpr_kernarg_preload_offset 0
		.amdhsa_user_sgpr_private_segment_size 0
		.amdhsa_uses_dynamic_stack 0
		.amdhsa_enable_private_segment 0
		.amdhsa_system_sgpr_workgroup_id_x 1
		.amdhsa_system_sgpr_workgroup_id_y 0
		.amdhsa_system_sgpr_workgroup_id_z 0
		.amdhsa_system_sgpr_workgroup_info 0
		.amdhsa_system_vgpr_workitem_id 0
		.amdhsa_next_free_vgpr 132
		.amdhsa_next_free_sgpr 24
		.amdhsa_accum_offset 132
		.amdhsa_reserve_vcc 1
		.amdhsa_float_round_mode_32 0
		.amdhsa_float_round_mode_16_64 0
		.amdhsa_float_denorm_mode_32 3
		.amdhsa_float_denorm_mode_16_64 3
		.amdhsa_dx10_clamp 1
		.amdhsa_ieee_mode 1
		.amdhsa_fp16_overflow 0
		.amdhsa_tg_split 0
		.amdhsa_exception_fp_ieee_invalid_op 0
		.amdhsa_exception_fp_denorm_src 0
		.amdhsa_exception_fp_ieee_div_zero 0
		.amdhsa_exception_fp_ieee_overflow 0
		.amdhsa_exception_fp_ieee_underflow 0
		.amdhsa_exception_fp_ieee_inexact 0
		.amdhsa_exception_int_div_zero 0
	.end_amdhsa_kernel
	.text
.Lfunc_end0:
	.size	fft_rtc_fwd_len3200_factors_10_10_4_4_2_wgs_160_tpt_160_halfLds_sp_ip_CI_sbrr_dirReg, .Lfunc_end0-fft_rtc_fwd_len3200_factors_10_10_4_4_2_wgs_160_tpt_160_halfLds_sp_ip_CI_sbrr_dirReg
                                        ; -- End function
	.section	.AMDGPU.csdata,"",@progbits
; Kernel info:
; codeLenInByte = 13336
; NumSgprs: 30
; NumVgprs: 132
; NumAgprs: 0
; TotalNumVgprs: 132
; ScratchSize: 0
; MemoryBound: 0
; FloatMode: 240
; IeeeMode: 1
; LDSByteSize: 0 bytes/workgroup (compile time only)
; SGPRBlocks: 3
; VGPRBlocks: 16
; NumSGPRsForWavesPerEU: 30
; NumVGPRsForWavesPerEU: 132
; AccumOffset: 132
; Occupancy: 3
; WaveLimiterHint : 1
; COMPUTE_PGM_RSRC2:SCRATCH_EN: 0
; COMPUTE_PGM_RSRC2:USER_SGPR: 2
; COMPUTE_PGM_RSRC2:TRAP_HANDLER: 0
; COMPUTE_PGM_RSRC2:TGID_X_EN: 1
; COMPUTE_PGM_RSRC2:TGID_Y_EN: 0
; COMPUTE_PGM_RSRC2:TGID_Z_EN: 0
; COMPUTE_PGM_RSRC2:TIDIG_COMP_CNT: 0
; COMPUTE_PGM_RSRC3_GFX90A:ACCUM_OFFSET: 32
; COMPUTE_PGM_RSRC3_GFX90A:TG_SPLIT: 0
	.text
	.p2alignl 6, 3212836864
	.fill 256, 4, 3212836864
	.type	__hip_cuid_e7441052a19ddcc5,@object ; @__hip_cuid_e7441052a19ddcc5
	.section	.bss,"aw",@nobits
	.globl	__hip_cuid_e7441052a19ddcc5
__hip_cuid_e7441052a19ddcc5:
	.byte	0                               ; 0x0
	.size	__hip_cuid_e7441052a19ddcc5, 1

	.ident	"AMD clang version 19.0.0git (https://github.com/RadeonOpenCompute/llvm-project roc-6.4.0 25133 c7fe45cf4b819c5991fe208aaa96edf142730f1d)"
	.section	".note.GNU-stack","",@progbits
	.addrsig
	.addrsig_sym __hip_cuid_e7441052a19ddcc5
	.amdgpu_metadata
---
amdhsa.kernels:
  - .agpr_count:     0
    .args:
      - .actual_access:  read_only
        .address_space:  global
        .offset:         0
        .size:           8
        .value_kind:     global_buffer
      - .offset:         8
        .size:           8
        .value_kind:     by_value
      - .actual_access:  read_only
        .address_space:  global
        .offset:         16
        .size:           8
        .value_kind:     global_buffer
      - .actual_access:  read_only
        .address_space:  global
        .offset:         24
        .size:           8
        .value_kind:     global_buffer
      - .offset:         32
        .size:           8
        .value_kind:     by_value
      - .actual_access:  read_only
        .address_space:  global
        .offset:         40
        .size:           8
        .value_kind:     global_buffer
      - .actual_access:  read_only
        .address_space:  global
        .offset:         48
        .size:           8
        .value_kind:     global_buffer
      - .offset:         56
        .size:           4
        .value_kind:     by_value
      - .actual_access:  read_only
        .address_space:  global
        .offset:         64
        .size:           8
        .value_kind:     global_buffer
      - .actual_access:  read_only
        .address_space:  global
        .offset:         72
        .size:           8
        .value_kind:     global_buffer
      - .address_space:  global
        .offset:         80
        .size:           8
        .value_kind:     global_buffer
    .group_segment_fixed_size: 0
    .kernarg_segment_align: 8
    .kernarg_segment_size: 88
    .language:       OpenCL C
    .language_version:
      - 2
      - 0
    .max_flat_workgroup_size: 160
    .name:           fft_rtc_fwd_len3200_factors_10_10_4_4_2_wgs_160_tpt_160_halfLds_sp_ip_CI_sbrr_dirReg
    .private_segment_fixed_size: 0
    .sgpr_count:     30
    .sgpr_spill_count: 0
    .symbol:         fft_rtc_fwd_len3200_factors_10_10_4_4_2_wgs_160_tpt_160_halfLds_sp_ip_CI_sbrr_dirReg.kd
    .uniform_work_group_size: 1
    .uses_dynamic_stack: false
    .vgpr_count:     132
    .vgpr_spill_count: 0
    .wavefront_size: 64
amdhsa.target:   amdgcn-amd-amdhsa--gfx950
amdhsa.version:
  - 1
  - 2
...

	.end_amdgpu_metadata
